;; amdgpu-corpus repo=zjin-lcf/HeCBench kind=compiled arch=gfx906 opt=O3
	.amdgcn_target "amdgcn-amd-amdhsa--gfx906"
	.amdhsa_code_object_version 6
	.section	.text._Z23bitPackConfigScanKernelIccEvPT_S1_PKT0_PKm,"axG",@progbits,_Z23bitPackConfigScanKernelIccEvPT_S1_PKT0_PKm,comdat
	.protected	_Z23bitPackConfigScanKernelIccEvPT_S1_PKT0_PKm ; -- Begin function _Z23bitPackConfigScanKernelIccEvPT_S1_PKT0_PKm
	.globl	_Z23bitPackConfigScanKernelIccEvPT_S1_PKT0_PKm
	.p2align	8
	.type	_Z23bitPackConfigScanKernelIccEvPT_S1_PKT0_PKm,@function
_Z23bitPackConfigScanKernelIccEvPT_S1_PKT0_PKm: ; @_Z23bitPackConfigScanKernelIccEvPT_S1_PKT0_PKm
; %bb.0:
	s_load_dwordx8 s[8:15], s[4:5], 0x0
	s_waitcnt lgkmcnt(0)
	s_load_dwordx2 s[0:1], s[14:15], 0x0
	s_mov_b32 s15, 0
	s_waitcnt lgkmcnt(0)
	s_lshr_b64 s[2:3], s[0:1], 8
	s_and_b32 s14, s0, 0xff
	s_cmp_lg_u64 s[14:15], 0
	s_cselect_b64 s[14:15], -1, 0
	s_cmp_lg_u64 s[14:15], 0
	s_addc_u32 s14, s2, 0
	s_cmp_ge_u32 s6, s14
	s_cbranch_scc1 .LBB0_82
; %bb.1:
	s_cmp_lt_i32 s6, s14
	s_cbranch_scc1 .LBB0_83
; %bb.2:
	s_cbranch_execz .LBB0_84
; %bb.3:
	s_mov_b32 s7, 0
	v_mov_b32_e32 v1, 0
	v_mov_b32_e32 v2, 0
.LBB0_4:
	s_movk_i32 s0, 0x7f
	ds_write_b8 v0, v1 offset:256
	ds_write_b8 v0, v2
	v_cmp_lt_u32_e32 vcc, s0, v0
	v_add_u32_e32 v1, 0xffffff80, v0
	s_waitcnt lgkmcnt(0)
	s_barrier
	s_and_saveexec_b64 s[0:1], vcc
	s_xor_b64 s[2:3], exec, s[0:1]
	s_cbranch_execz .LBB0_8
; %bb.5:
	v_cmp_gt_i32_e64 s[0:1], s7, v0
	s_and_saveexec_b64 s[4:5], s[0:1]
	s_cbranch_execz .LBB0_7
; %bb.6:
	ds_read_i8 v2, v1
	ds_read_i8 v3, v0
	s_waitcnt lgkmcnt(0)
	v_max_i16_e32 v2, v2, v3
	ds_write_b8 v1, v2
.LBB0_7:
	s_or_b64 exec, exec, s[4:5]
.LBB0_8:
	s_andn2_saveexec_b64 s[2:3], s[2:3]
	s_cbranch_execz .LBB0_12
; %bb.9:
	v_or_b32_e32 v2, 0x80, v0
	v_cmp_gt_i32_e64 s[0:1], s7, v2
	s_and_saveexec_b64 s[4:5], s[0:1]
	s_cbranch_execz .LBB0_11
; %bb.10:
	ds_read_i8 v2, v0 offset:256
	ds_read_i8 v3, v0 offset:384
	s_waitcnt lgkmcnt(0)
	v_min_i16_e32 v2, v2, v3
	ds_write_b8 v0, v2 offset:256
.LBB0_11:
	s_or_b64 exec, exec, s[4:5]
.LBB0_12:
	s_or_b64 exec, exec, s[2:3]
	s_waitcnt lgkmcnt(0)
	s_barrier
	s_and_saveexec_b64 s[0:1], vcc
	s_xor_b64 s[2:3], exec, s[0:1]
	s_cbranch_execz .LBB0_17
; %bb.13:
	s_movk_i32 s0, 0xc0
	v_cmp_gt_u32_e64 s[0:1], s0, v0
	s_and_saveexec_b64 s[4:5], s[0:1]
	s_cbranch_execz .LBB0_16
; %bb.14:
	v_subrev_u32_e32 v2, 64, v0
	v_cmp_gt_i32_e64 s[0:1], s7, v2
	s_and_b64 exec, exec, s[0:1]
	s_cbranch_execz .LBB0_16
; %bb.15:
	ds_read_i8 v3, v1
	ds_read_i8 v2, v2
	s_waitcnt lgkmcnt(0)
	v_max_i16_e32 v2, v3, v2
	ds_write_b8 v1, v2
.LBB0_16:
	s_or_b64 exec, exec, s[4:5]
.LBB0_17:
	s_andn2_saveexec_b64 s[2:3], s[2:3]
	s_cbranch_execz .LBB0_22
; %bb.18:
	v_cmp_gt_u32_e64 s[0:1], 64, v0
	s_and_saveexec_b64 s[4:5], s[0:1]
	s_cbranch_execz .LBB0_21
; %bb.19:
	v_or_b32_e32 v2, 64, v0
	v_cmp_gt_i32_e64 s[0:1], s7, v2
	s_and_b64 exec, exec, s[0:1]
	s_cbranch_execz .LBB0_21
; %bb.20:
	ds_read_i8 v2, v0 offset:256
	ds_read_i8 v3, v0 offset:320
	s_waitcnt lgkmcnt(0)
	v_min_i16_e32 v2, v2, v3
	ds_write_b8 v0, v2 offset:256
.LBB0_21:
	s_or_b64 exec, exec, s[4:5]
.LBB0_22:
	s_or_b64 exec, exec, s[2:3]
	s_waitcnt lgkmcnt(0)
	s_barrier
	s_and_saveexec_b64 s[0:1], vcc
	s_xor_b64 s[2:3], exec, s[0:1]
	s_cbranch_execz .LBB0_27
; %bb.23:
	s_movk_i32 s0, 0xa0
	v_cmp_gt_u32_e64 s[0:1], s0, v0
	s_and_saveexec_b64 s[4:5], s[0:1]
	s_cbranch_execz .LBB0_26
; %bb.24:
	v_add_u32_e32 v2, 0xffffffa0, v0
	v_cmp_gt_i32_e64 s[0:1], s7, v2
	s_and_b64 exec, exec, s[0:1]
	s_cbranch_execz .LBB0_26
; %bb.25:
	ds_read_i8 v3, v1
	ds_read_i8 v2, v2
	s_waitcnt lgkmcnt(0)
	v_max_i16_e32 v2, v3, v2
	ds_write_b8 v1, v2
.LBB0_26:
	s_or_b64 exec, exec, s[4:5]
.LBB0_27:
	s_andn2_saveexec_b64 s[2:3], s[2:3]
	s_cbranch_execz .LBB0_32
; %bb.28:
	v_cmp_gt_u32_e64 s[0:1], 32, v0
	s_and_saveexec_b64 s[4:5], s[0:1]
	s_cbranch_execz .LBB0_31
; %bb.29:
	v_or_b32_e32 v2, 32, v0
	v_cmp_gt_i32_e64 s[0:1], s7, v2
	s_and_b64 exec, exec, s[0:1]
	s_cbranch_execz .LBB0_31
; %bb.30:
	ds_read_i8 v2, v0 offset:256
	ds_read_i8 v3, v0 offset:288
	s_waitcnt lgkmcnt(0)
	v_min_i16_e32 v2, v2, v3
	ds_write_b8 v0, v2 offset:256
.LBB0_31:
	s_or_b64 exec, exec, s[4:5]
.LBB0_32:
	s_or_b64 exec, exec, s[2:3]
	s_waitcnt lgkmcnt(0)
	s_barrier
	s_and_saveexec_b64 s[0:1], vcc
	s_xor_b64 s[2:3], exec, s[0:1]
	s_cbranch_execz .LBB0_37
; %bb.33:
	s_movk_i32 s0, 0x90
	v_cmp_gt_u32_e64 s[0:1], s0, v0
	s_and_saveexec_b64 s[4:5], s[0:1]
	s_cbranch_execz .LBB0_36
; %bb.34:
	v_add_u32_e32 v2, 0xffffff90, v0
	v_cmp_gt_i32_e64 s[0:1], s7, v2
	s_and_b64 exec, exec, s[0:1]
	s_cbranch_execz .LBB0_36
; %bb.35:
	ds_read_i8 v3, v1
	ds_read_i8 v2, v2
	s_waitcnt lgkmcnt(0)
	v_max_i16_e32 v2, v3, v2
	ds_write_b8 v1, v2
.LBB0_36:
	s_or_b64 exec, exec, s[4:5]
.LBB0_37:
	;; [unrolled: 45-line block ×5, first 2 shown]
	s_andn2_saveexec_b64 s[2:3], s[2:3]
	s_cbranch_execz .LBB0_72
; %bb.68:
	v_cmp_gt_u32_e64 s[0:1], 2, v0
	s_and_saveexec_b64 s[4:5], s[0:1]
	s_cbranch_execz .LBB0_71
; %bb.69:
	v_or_b32_e32 v2, 2, v0
	v_cmp_gt_i32_e64 s[0:1], s7, v2
	s_and_b64 exec, exec, s[0:1]
	s_cbranch_execz .LBB0_71
; %bb.70:
	ds_read_i8 v2, v0 offset:256
	ds_read_i8 v3, v0 offset:258
	s_waitcnt lgkmcnt(0)
	v_min_i16_e32 v2, v2, v3
	ds_write_b8 v0, v2 offset:256
.LBB0_71:
	s_or_b64 exec, exec, s[4:5]
.LBB0_72:
	s_or_b64 exec, exec, s[2:3]
	s_cmp_gt_i32 s7, 1
	s_cselect_b64 s[0:1], -1, 0
	s_waitcnt lgkmcnt(0)
	s_barrier
	s_and_saveexec_b64 s[2:3], vcc
	s_xor_b64 s[2:3], exec, s[2:3]
	s_cbranch_execz .LBB0_76
; %bb.73:
	s_movk_i32 s4, 0x80
	v_cmp_eq_u32_e32 vcc, s4, v0
	s_and_b64 s[12:13], vcc, s[0:1]
	s_and_saveexec_b64 s[4:5], s[12:13]
	s_cbranch_execz .LBB0_75
; %bb.74:
	v_mov_b32_e32 v2, 0
	ds_read_i8 v3, v1
	ds_read_i8 v2, v2 offset:1
	s_waitcnt lgkmcnt(0)
	v_max_i16_e32 v2, v3, v2
	ds_write_b8 v1, v2
.LBB0_75:
	s_or_b64 exec, exec, s[4:5]
.LBB0_76:
	s_andn2_saveexec_b64 s[2:3], s[2:3]
	s_cbranch_execz .LBB0_80
; %bb.77:
	v_cmp_eq_u32_e32 vcc, 0, v0
	s_and_b64 s[4:5], vcc, s[0:1]
	s_and_saveexec_b64 s[0:1], s[4:5]
	s_cbranch_execz .LBB0_79
; %bb.78:
	v_mov_b32_e32 v1, 0
	ds_read_i8 v2, v0 offset:256
	ds_read_i8 v1, v1 offset:257
	s_waitcnt lgkmcnt(0)
	v_min_i16_e32 v1, v2, v1
	ds_write_b8 v0, v1 offset:256
.LBB0_79:
	s_or_b64 exec, exec, s[0:1]
.LBB0_80:
	s_or_b64 exec, exec, s[2:3]
	v_cmp_eq_u32_e32 vcc, 0, v0
	s_waitcnt lgkmcnt(0)
	s_barrier
	s_and_saveexec_b64 s[0:1], vcc
	s_cbranch_execz .LBB0_82
; %bb.81:
	v_mov_b32_e32 v0, 0
	ds_read_u8 v1, v0 offset:256
	ds_read_u8 v0, v0
	v_mov_b32_e32 v2, s6
	s_waitcnt lgkmcnt(1)
	global_store_byte v2, v1, s[8:9]
	s_waitcnt lgkmcnt(0)
	global_store_byte v2, v0, s[10:11]
.LBB0_82:
	s_endpgm
.LBB0_83:
.LBB0_84:
	s_load_dword s2, s[4:5], 0x20
	s_lshl_b32 s1, s6, 8
	v_mov_b32_e32 v1, 0
	v_add_u32_e32 v3, s1, v0
	s_sub_i32 s3, s0, s1
	s_waitcnt lgkmcnt(0)
	s_lshl_b32 s4, s2, 8
	s_mov_b32 s5, 0
	v_mov_b32_e32 v2, 0
	s_mov_b32 s7, 0
	s_branch .LBB0_86
.LBB0_85:                               ;   in Loop: Header=BB0_86 Depth=1
	s_or_b64 exec, exec, s[0:1]
	s_add_i32 s5, s5, s2
	s_max_i32 s7, s7, s15
	s_add_i32 s0, s6, s5
	s_sub_i32 s3, s3, s4
	s_cmp_ge_i32 s0, s14
	v_add_u32_e32 v3, s4, v3
	s_cbranch_scc1 .LBB0_4
.LBB0_86:                               ; =>This Inner Loop Header: Depth=1
	s_min_i32 s15, s3, 0x100
	v_cmp_gt_u32_e32 vcc, s15, v0
	s_and_saveexec_b64 s[0:1], vcc
	s_cbranch_execz .LBB0_85
; %bb.87:                               ;   in Loop: Header=BB0_86 Depth=1
	global_load_sbyte v4, v3, s[12:13]
	s_cmp_eq_u32 s5, 0
	s_cselect_b64 vcc, -1, 0
	s_waitcnt vmcnt(0)
	v_min_i16_sdwa v1, v4, sext(v1) dst_sel:DWORD dst_unused:UNUSED_PAD src0_sel:DWORD src1_sel:BYTE_0
	v_max_i16_sdwa v2, v4, sext(v2) dst_sel:DWORD dst_unused:UNUSED_PAD src0_sel:DWORD src1_sel:BYTE_0
	v_cndmask_b32_e32 v2, v2, v4, vcc
	v_cndmask_b32_e32 v1, v1, v4, vcc
	s_branch .LBB0_85
	.section	.rodata,"a",@progbits
	.p2align	6, 0x0
	.amdhsa_kernel _Z23bitPackConfigScanKernelIccEvPT_S1_PKT0_PKm
		.amdhsa_group_segment_fixed_size 512
		.amdhsa_private_segment_fixed_size 0
		.amdhsa_kernarg_size 288
		.amdhsa_user_sgpr_count 6
		.amdhsa_user_sgpr_private_segment_buffer 1
		.amdhsa_user_sgpr_dispatch_ptr 0
		.amdhsa_user_sgpr_queue_ptr 0
		.amdhsa_user_sgpr_kernarg_segment_ptr 1
		.amdhsa_user_sgpr_dispatch_id 0
		.amdhsa_user_sgpr_flat_scratch_init 0
		.amdhsa_user_sgpr_private_segment_size 0
		.amdhsa_uses_dynamic_stack 0
		.amdhsa_system_sgpr_private_segment_wavefront_offset 0
		.amdhsa_system_sgpr_workgroup_id_x 1
		.amdhsa_system_sgpr_workgroup_id_y 0
		.amdhsa_system_sgpr_workgroup_id_z 0
		.amdhsa_system_sgpr_workgroup_info 0
		.amdhsa_system_vgpr_workitem_id 0
		.amdhsa_next_free_vgpr 5
		.amdhsa_next_free_sgpr 16
		.amdhsa_reserve_vcc 1
		.amdhsa_reserve_flat_scratch 0
		.amdhsa_float_round_mode_32 0
		.amdhsa_float_round_mode_16_64 0
		.amdhsa_float_denorm_mode_32 3
		.amdhsa_float_denorm_mode_16_64 3
		.amdhsa_dx10_clamp 1
		.amdhsa_ieee_mode 1
		.amdhsa_fp16_overflow 0
		.amdhsa_exception_fp_ieee_invalid_op 0
		.amdhsa_exception_fp_denorm_src 0
		.amdhsa_exception_fp_ieee_div_zero 0
		.amdhsa_exception_fp_ieee_overflow 0
		.amdhsa_exception_fp_ieee_underflow 0
		.amdhsa_exception_fp_ieee_inexact 0
		.amdhsa_exception_int_div_zero 0
	.end_amdhsa_kernel
	.section	.text._Z23bitPackConfigScanKernelIccEvPT_S1_PKT0_PKm,"axG",@progbits,_Z23bitPackConfigScanKernelIccEvPT_S1_PKT0_PKm,comdat
.Lfunc_end0:
	.size	_Z23bitPackConfigScanKernelIccEvPT_S1_PKT0_PKm, .Lfunc_end0-_Z23bitPackConfigScanKernelIccEvPT_S1_PKT0_PKm
                                        ; -- End function
	.set _Z23bitPackConfigScanKernelIccEvPT_S1_PKT0_PKm.num_vgpr, 5
	.set _Z23bitPackConfigScanKernelIccEvPT_S1_PKT0_PKm.num_agpr, 0
	.set _Z23bitPackConfigScanKernelIccEvPT_S1_PKT0_PKm.numbered_sgpr, 16
	.set _Z23bitPackConfigScanKernelIccEvPT_S1_PKT0_PKm.num_named_barrier, 0
	.set _Z23bitPackConfigScanKernelIccEvPT_S1_PKT0_PKm.private_seg_size, 0
	.set _Z23bitPackConfigScanKernelIccEvPT_S1_PKT0_PKm.uses_vcc, 1
	.set _Z23bitPackConfigScanKernelIccEvPT_S1_PKT0_PKm.uses_flat_scratch, 0
	.set _Z23bitPackConfigScanKernelIccEvPT_S1_PKT0_PKm.has_dyn_sized_stack, 0
	.set _Z23bitPackConfigScanKernelIccEvPT_S1_PKT0_PKm.has_recursion, 0
	.set _Z23bitPackConfigScanKernelIccEvPT_S1_PKT0_PKm.has_indirect_call, 0
	.section	.AMDGPU.csdata,"",@progbits
; Kernel info:
; codeLenInByte = 1740
; TotalNumSgprs: 20
; NumVgprs: 5
; ScratchSize: 0
; MemoryBound: 0
; FloatMode: 240
; IeeeMode: 1
; LDSByteSize: 512 bytes/workgroup (compile time only)
; SGPRBlocks: 2
; VGPRBlocks: 1
; NumSGPRsForWavesPerEU: 20
; NumVGPRsForWavesPerEU: 5
; Occupancy: 10
; WaveLimiterHint : 0
; COMPUTE_PGM_RSRC2:SCRATCH_EN: 0
; COMPUTE_PGM_RSRC2:USER_SGPR: 6
; COMPUTE_PGM_RSRC2:TRAP_HANDLER: 0
; COMPUTE_PGM_RSRC2:TGID_X_EN: 1
; COMPUTE_PGM_RSRC2:TGID_Y_EN: 0
; COMPUTE_PGM_RSRC2:TGID_Z_EN: 0
; COMPUTE_PGM_RSRC2:TIDIG_COMP_CNT: 0
	.section	.text._Z27bitPackConfigFinalizeKernelIccEvPKT_S2_PhPT0_PKm,"axG",@progbits,_Z27bitPackConfigFinalizeKernelIccEvPKT_S2_PhPT0_PKm,comdat
	.protected	_Z27bitPackConfigFinalizeKernelIccEvPKT_S2_PhPT0_PKm ; -- Begin function _Z27bitPackConfigFinalizeKernelIccEvPKT_S2_PhPT0_PKm
	.globl	_Z27bitPackConfigFinalizeKernelIccEvPKT_S2_PhPT0_PKm
	.p2align	8
	.type	_Z27bitPackConfigFinalizeKernelIccEvPKT_S2_PhPT0_PKm,@function
_Z27bitPackConfigFinalizeKernelIccEvPKT_S2_PhPT0_PKm: ; @_Z27bitPackConfigFinalizeKernelIccEvPKT_S2_PhPT0_PKm
; %bb.0:
	s_load_dwordx2 s[0:1], s[4:5], 0x20
	s_mov_b32 s3, 0
	s_load_dwordx8 s[8:15], s[4:5], 0x0
	s_waitcnt lgkmcnt(0)
	s_load_dwordx2 s[0:1], s[0:1], 0x0
	s_waitcnt lgkmcnt(0)
	s_lshr_b64 s[4:5], s[0:1], 8
	s_and_b32 s2, s0, 0xff
	s_cmp_lg_u64 s[2:3], 0
	s_cselect_b64 s[0:1], -1, 0
	v_cndmask_b32_e64 v2, 0, 1, s[0:1]
	v_mov_b32_e32 v1, s5
	v_add_co_u32_e32 v2, vcc, s4, v2
	v_addc_co_u32_e32 v3, vcc, 0, v1, vcc
	s_mov_b64 s[0:1], 0x1000
	v_cmp_gt_u64_e32 vcc, s[0:1], v[2:3]
	v_mov_b32_e32 v1, 0x1000
	v_cndmask_b32_e32 v6, v1, v2, vcc
	v_cmp_lt_u32_e32 vcc, v0, v6
	s_and_saveexec_b64 s[2:3], vcc
	s_cbranch_execz .LBB1_6
; %bb.1:
	global_load_ubyte v7, v0, s[8:9]
	global_load_ubyte v8, v0, s[10:11]
	v_add_u32_e32 v1, 0x100, v0
	v_cmp_lt_u32_e32 vcc, v1, v6
	s_and_saveexec_b64 s[4:5], vcc
	s_cbranch_execz .LBB1_5
; %bb.2:
	s_add_u32 s8, s8, 0x100
	s_addc_u32 s0, s9, 0
	v_mov_b32_e32 v1, 0
	s_add_u32 s9, s10, 0x100
	s_addc_u32 s1, s11, 0
	v_mov_b32_e32 v5, v1
	s_mov_b64 s[6:7], 0
	v_mov_b32_e32 v9, s0
	v_mov_b32_e32 v10, s1
	s_movk_i32 s10, 0xeff
	v_mov_b32_e32 v4, v0
.LBB1_3:                                ; =>This Inner Loop Header: Depth=1
	v_add_co_u32_e32 v11, vcc, s8, v4
	v_addc_co_u32_e32 v12, vcc, v9, v5, vcc
	v_add_co_u32_e32 v13, vcc, s9, v4
	v_addc_co_u32_e32 v14, vcc, v10, v5, vcc
	global_load_sbyte v1, v[11:12], off
	global_load_sbyte v15, v[13:14], off
	v_add_co_u32_e32 v11, vcc, 0x100, v4
	v_add_u32_e32 v4, 0x200, v4
	v_addc_co_u32_e32 v12, vcc, 0, v5, vcc
	v_cmp_lt_u32_e32 vcc, s10, v11
	v_cmp_ge_u32_e64 s[0:1], v4, v6
	s_or_b64 s[0:1], vcc, s[0:1]
	v_mov_b32_e32 v4, v11
	s_and_b64 s[0:1], exec, s[0:1]
	v_mov_b32_e32 v5, v12
	s_or_b64 s[6:7], s[0:1], s[6:7]
	s_waitcnt vmcnt(1)
	v_min_i16_sdwa v7, v1, sext(v7) dst_sel:DWORD dst_unused:UNUSED_PAD src0_sel:DWORD src1_sel:BYTE_0
	s_waitcnt vmcnt(0)
	v_max_i16_sdwa v8, v15, sext(v8) dst_sel:DWORD dst_unused:UNUSED_PAD src0_sel:DWORD src1_sel:BYTE_0
	s_andn2_b64 exec, exec, s[6:7]
	s_cbranch_execnz .LBB1_3
; %bb.4:
	s_or_b64 exec, exec, s[6:7]
.LBB1_5:
	s_or_b64 exec, exec, s[4:5]
	s_waitcnt vmcnt(1)
	ds_write_b8 v0, v7 offset:256
	s_waitcnt vmcnt(0)
	ds_write_b8 v0, v8
.LBB1_6:
	s_or_b64 exec, exec, s[2:3]
	s_movk_i32 s0, 0x7f
	v_min_u32_e32 v4, 0x100, v6
	v_cmp_lt_u32_e32 vcc, s0, v0
	v_add_u32_e32 v1, 0xffffff80, v0
	s_waitcnt lgkmcnt(0)
	s_barrier
	s_and_saveexec_b64 s[0:1], vcc
	s_xor_b64 s[2:3], exec, s[0:1]
	s_cbranch_execz .LBB1_10
; %bb.7:
	v_cmp_lt_u32_e64 s[0:1], v0, v4
	s_and_saveexec_b64 s[4:5], s[0:1]
	s_cbranch_execz .LBB1_9
; %bb.8:
	ds_read_i8 v5, v1
	ds_read_i8 v6, v0
	s_waitcnt lgkmcnt(0)
	v_max_i16_e32 v5, v5, v6
	ds_write_b8 v1, v5
.LBB1_9:
	s_or_b64 exec, exec, s[4:5]
.LBB1_10:
	s_andn2_saveexec_b64 s[2:3], s[2:3]
	s_cbranch_execz .LBB1_14
; %bb.11:
	v_or_b32_e32 v5, 0x80, v0
	v_cmp_lt_u32_e64 s[0:1], v5, v4
	s_and_saveexec_b64 s[4:5], s[0:1]
	s_cbranch_execz .LBB1_13
; %bb.12:
	ds_read_i8 v5, v0 offset:256
	ds_read_i8 v6, v0 offset:384
	s_waitcnt lgkmcnt(0)
	v_min_i16_e32 v5, v5, v6
	ds_write_b8 v0, v5 offset:256
.LBB1_13:
	s_or_b64 exec, exec, s[4:5]
.LBB1_14:
	s_or_b64 exec, exec, s[2:3]
	s_waitcnt lgkmcnt(0)
	s_barrier
	s_and_saveexec_b64 s[0:1], vcc
	s_xor_b64 s[2:3], exec, s[0:1]
	s_cbranch_execz .LBB1_19
; %bb.15:
	s_movk_i32 s0, 0xc0
	v_cmp_gt_u32_e64 s[0:1], s0, v0
	s_and_saveexec_b64 s[4:5], s[0:1]
	s_cbranch_execz .LBB1_18
; %bb.16:
	v_subrev_u32_e32 v5, 64, v0
	v_cmp_lt_u32_e64 s[0:1], v5, v4
	s_and_b64 exec, exec, s[0:1]
	s_cbranch_execz .LBB1_18
; %bb.17:
	ds_read_i8 v6, v1
	ds_read_i8 v5, v5
	s_waitcnt lgkmcnt(0)
	v_max_i16_e32 v5, v6, v5
	ds_write_b8 v1, v5
.LBB1_18:
	s_or_b64 exec, exec, s[4:5]
.LBB1_19:
	s_andn2_saveexec_b64 s[2:3], s[2:3]
	s_cbranch_execz .LBB1_24
; %bb.20:
	v_cmp_gt_u32_e64 s[0:1], 64, v0
	s_and_saveexec_b64 s[4:5], s[0:1]
	s_cbranch_execz .LBB1_23
; %bb.21:
	v_or_b32_e32 v5, 64, v0
	v_cmp_lt_u32_e64 s[0:1], v5, v4
	s_and_b64 exec, exec, s[0:1]
	s_cbranch_execz .LBB1_23
; %bb.22:
	ds_read_i8 v5, v0 offset:256
	ds_read_i8 v6, v0 offset:320
	s_waitcnt lgkmcnt(0)
	v_min_i16_e32 v5, v5, v6
	ds_write_b8 v0, v5 offset:256
.LBB1_23:
	s_or_b64 exec, exec, s[4:5]
.LBB1_24:
	s_or_b64 exec, exec, s[2:3]
	s_waitcnt lgkmcnt(0)
	s_barrier
	s_and_saveexec_b64 s[0:1], vcc
	s_xor_b64 s[2:3], exec, s[0:1]
	s_cbranch_execz .LBB1_29
; %bb.25:
	s_movk_i32 s0, 0xa0
	v_cmp_gt_u32_e64 s[0:1], s0, v0
	s_and_saveexec_b64 s[4:5], s[0:1]
	s_cbranch_execz .LBB1_28
; %bb.26:
	v_add_u32_e32 v5, 0xffffffa0, v0
	v_cmp_lt_u32_e64 s[0:1], v5, v4
	s_and_b64 exec, exec, s[0:1]
	s_cbranch_execz .LBB1_28
; %bb.27:
	ds_read_i8 v6, v1
	ds_read_i8 v5, v5
	s_waitcnt lgkmcnt(0)
	v_max_i16_e32 v5, v6, v5
	ds_write_b8 v1, v5
.LBB1_28:
	s_or_b64 exec, exec, s[4:5]
.LBB1_29:
	s_andn2_saveexec_b64 s[2:3], s[2:3]
	s_cbranch_execz .LBB1_34
; %bb.30:
	v_cmp_gt_u32_e64 s[0:1], 32, v0
	s_and_saveexec_b64 s[4:5], s[0:1]
	s_cbranch_execz .LBB1_33
; %bb.31:
	v_or_b32_e32 v5, 32, v0
	v_cmp_lt_u32_e64 s[0:1], v5, v4
	s_and_b64 exec, exec, s[0:1]
	s_cbranch_execz .LBB1_33
; %bb.32:
	ds_read_i8 v5, v0 offset:256
	ds_read_i8 v6, v0 offset:288
	s_waitcnt lgkmcnt(0)
	v_min_i16_e32 v5, v5, v6
	ds_write_b8 v0, v5 offset:256
.LBB1_33:
	s_or_b64 exec, exec, s[4:5]
.LBB1_34:
	s_or_b64 exec, exec, s[2:3]
	s_waitcnt lgkmcnt(0)
	s_barrier
	s_and_saveexec_b64 s[0:1], vcc
	s_xor_b64 s[2:3], exec, s[0:1]
	s_cbranch_execz .LBB1_39
; %bb.35:
	s_movk_i32 s0, 0x90
	v_cmp_gt_u32_e64 s[0:1], s0, v0
	s_and_saveexec_b64 s[4:5], s[0:1]
	s_cbranch_execz .LBB1_38
; %bb.36:
	v_add_u32_e32 v5, 0xffffff90, v0
	v_cmp_lt_u32_e64 s[0:1], v5, v4
	s_and_b64 exec, exec, s[0:1]
	s_cbranch_execz .LBB1_38
; %bb.37:
	ds_read_i8 v6, v1
	ds_read_i8 v5, v5
	s_waitcnt lgkmcnt(0)
	v_max_i16_e32 v5, v6, v5
	ds_write_b8 v1, v5
.LBB1_38:
	s_or_b64 exec, exec, s[4:5]
.LBB1_39:
	;; [unrolled: 45-line block ×4, first 2 shown]
	s_andn2_saveexec_b64 s[2:3], s[2:3]
	s_cbranch_execz .LBB1_64
; %bb.60:
	v_cmp_gt_u32_e64 s[0:1], 4, v0
	s_and_saveexec_b64 s[4:5], s[0:1]
	s_cbranch_execz .LBB1_63
; %bb.61:
	v_or_b32_e32 v5, 4, v0
	v_cmp_lt_u32_e64 s[0:1], v5, v4
	s_and_b64 exec, exec, s[0:1]
	s_cbranch_execz .LBB1_63
; %bb.62:
	ds_read_i8 v5, v0 offset:256
	ds_read_i8 v6, v0 offset:260
	s_waitcnt lgkmcnt(0)
	v_min_i16_e32 v5, v5, v6
	ds_write_b8 v0, v5 offset:256
.LBB1_63:
	s_or_b64 exec, exec, s[4:5]
.LBB1_64:
	s_or_b64 exec, exec, s[2:3]
	s_waitcnt lgkmcnt(0)
	s_barrier
	s_and_saveexec_b64 s[0:1], vcc
	s_xor_b64 s[2:3], exec, s[0:1]
	s_cbranch_execz .LBB1_69
; %bb.65:
	s_movk_i32 s0, 0x82
	v_cmp_gt_u32_e64 s[0:1], s0, v0
	s_and_saveexec_b64 s[4:5], s[0:1]
	s_cbranch_execz .LBB1_68
; %bb.66:
	v_add_u32_e32 v5, 0xffffff82, v0
	v_cmp_lt_u32_e64 s[0:1], v5, v4
	s_and_b64 exec, exec, s[0:1]
	s_cbranch_execz .LBB1_68
; %bb.67:
	ds_read_i8 v4, v1
	ds_read_i8 v5, v5
	s_waitcnt lgkmcnt(0)
	v_max_i16_e32 v4, v4, v5
	ds_write_b8 v1, v4
.LBB1_68:
	s_or_b64 exec, exec, s[4:5]
                                        ; implicit-def: $vgpr4
.LBB1_69:
	s_andn2_saveexec_b64 s[2:3], s[2:3]
	s_cbranch_execz .LBB1_74
; %bb.70:
	v_cmp_gt_u32_e64 s[0:1], 2, v0
	s_and_saveexec_b64 s[4:5], s[0:1]
	s_cbranch_execz .LBB1_73
; %bb.71:
	v_or_b32_e32 v5, 2, v0
	v_cmp_lt_u32_e64 s[0:1], v5, v4
	s_and_b64 exec, exec, s[0:1]
	s_cbranch_execz .LBB1_73
; %bb.72:
	ds_read_i8 v4, v0 offset:256
	ds_read_i8 v5, v0 offset:258
	s_waitcnt lgkmcnt(0)
	v_min_i16_e32 v4, v4, v5
	ds_write_b8 v0, v4 offset:256
.LBB1_73:
	s_or_b64 exec, exec, s[4:5]
.LBB1_74:
	s_or_b64 exec, exec, s[2:3]
	v_cmp_lt_u64_e64 s[0:1], 1, v[2:3]
	s_waitcnt lgkmcnt(0)
	s_barrier
	s_and_saveexec_b64 s[2:3], vcc
	s_xor_b64 s[2:3], exec, s[2:3]
	s_cbranch_execz .LBB1_78
; %bb.75:
	s_movk_i32 s4, 0x80
	v_cmp_eq_u32_e32 vcc, s4, v0
	s_and_b64 s[6:7], vcc, s[0:1]
	s_and_saveexec_b64 s[4:5], s[6:7]
	s_cbranch_execz .LBB1_77
; %bb.76:
	v_mov_b32_e32 v2, 0
	ds_read_i8 v3, v1
	ds_read_i8 v2, v2 offset:1
	s_waitcnt lgkmcnt(0)
	v_max_i16_e32 v2, v3, v2
	ds_write_b8 v1, v2
.LBB1_77:
	s_or_b64 exec, exec, s[4:5]
.LBB1_78:
	s_andn2_saveexec_b64 s[2:3], s[2:3]
	s_cbranch_execz .LBB1_82
; %bb.79:
	v_cmp_eq_u32_e32 vcc, 0, v0
	s_and_b64 s[4:5], vcc, s[0:1]
	s_and_saveexec_b64 s[0:1], s[4:5]
	s_cbranch_execz .LBB1_81
; %bb.80:
	v_mov_b32_e32 v1, 0
	ds_read_i8 v2, v0 offset:256
	ds_read_i8 v1, v1 offset:257
	s_waitcnt lgkmcnt(0)
	v_min_i16_e32 v1, v2, v1
	ds_write_b8 v0, v1 offset:256
.LBB1_81:
	s_or_b64 exec, exec, s[0:1]
.LBB1_82:
	s_or_b64 exec, exec, s[2:3]
	v_cmp_eq_u32_e32 vcc, 0, v0
	s_waitcnt lgkmcnt(0)
	s_barrier
	s_and_saveexec_b64 s[0:1], vcc
	s_cbranch_execz .LBB1_84
; %bb.83:
	v_mov_b32_e32 v0, 0
	ds_read_u8 v1, v0 offset:256
	ds_read_i8 v2, v0
	s_waitcnt lgkmcnt(1)
	global_store_byte v0, v1, s[14:15]
	s_waitcnt lgkmcnt(0)
	v_sub_u32_sdwa v1, v2, sext(v1) dst_sel:DWORD dst_unused:UNUSED_PAD src0_sel:DWORD src1_sel:BYTE_0
	v_ffbh_u32_e32 v1, v1
	v_min_u32_e32 v1, 0xffff, v1
	v_sub_u16_e64 v1, 32, v1 clamp
	global_store_byte v0, v1, s[12:13]
.LBB1_84:
	s_endpgm
	.section	.rodata,"a",@progbits
	.p2align	6, 0x0
	.amdhsa_kernel _Z27bitPackConfigFinalizeKernelIccEvPKT_S2_PhPT0_PKm
		.amdhsa_group_segment_fixed_size 512
		.amdhsa_private_segment_fixed_size 0
		.amdhsa_kernarg_size 40
		.amdhsa_user_sgpr_count 6
		.amdhsa_user_sgpr_private_segment_buffer 1
		.amdhsa_user_sgpr_dispatch_ptr 0
		.amdhsa_user_sgpr_queue_ptr 0
		.amdhsa_user_sgpr_kernarg_segment_ptr 1
		.amdhsa_user_sgpr_dispatch_id 0
		.amdhsa_user_sgpr_flat_scratch_init 0
		.amdhsa_user_sgpr_private_segment_size 0
		.amdhsa_uses_dynamic_stack 0
		.amdhsa_system_sgpr_private_segment_wavefront_offset 0
		.amdhsa_system_sgpr_workgroup_id_x 1
		.amdhsa_system_sgpr_workgroup_id_y 0
		.amdhsa_system_sgpr_workgroup_id_z 0
		.amdhsa_system_sgpr_workgroup_info 0
		.amdhsa_system_vgpr_workitem_id 0
		.amdhsa_next_free_vgpr 16
		.amdhsa_next_free_sgpr 16
		.amdhsa_reserve_vcc 1
		.amdhsa_reserve_flat_scratch 0
		.amdhsa_float_round_mode_32 0
		.amdhsa_float_round_mode_16_64 0
		.amdhsa_float_denorm_mode_32 3
		.amdhsa_float_denorm_mode_16_64 3
		.amdhsa_dx10_clamp 1
		.amdhsa_ieee_mode 1
		.amdhsa_fp16_overflow 0
		.amdhsa_exception_fp_ieee_invalid_op 0
		.amdhsa_exception_fp_denorm_src 0
		.amdhsa_exception_fp_ieee_div_zero 0
		.amdhsa_exception_fp_ieee_overflow 0
		.amdhsa_exception_fp_ieee_underflow 0
		.amdhsa_exception_fp_ieee_inexact 0
		.amdhsa_exception_int_div_zero 0
	.end_amdhsa_kernel
	.section	.text._Z27bitPackConfigFinalizeKernelIccEvPKT_S2_PhPT0_PKm,"axG",@progbits,_Z27bitPackConfigFinalizeKernelIccEvPKT_S2_PhPT0_PKm,comdat
.Lfunc_end1:
	.size	_Z27bitPackConfigFinalizeKernelIccEvPKT_S2_PhPT0_PKm, .Lfunc_end1-_Z27bitPackConfigFinalizeKernelIccEvPKT_S2_PhPT0_PKm
                                        ; -- End function
	.set _Z27bitPackConfigFinalizeKernelIccEvPKT_S2_PhPT0_PKm.num_vgpr, 16
	.set _Z27bitPackConfigFinalizeKernelIccEvPKT_S2_PhPT0_PKm.num_agpr, 0
	.set _Z27bitPackConfigFinalizeKernelIccEvPKT_S2_PhPT0_PKm.numbered_sgpr, 16
	.set _Z27bitPackConfigFinalizeKernelIccEvPKT_S2_PhPT0_PKm.num_named_barrier, 0
	.set _Z27bitPackConfigFinalizeKernelIccEvPKT_S2_PhPT0_PKm.private_seg_size, 0
	.set _Z27bitPackConfigFinalizeKernelIccEvPKT_S2_PhPT0_PKm.uses_vcc, 1
	.set _Z27bitPackConfigFinalizeKernelIccEvPKT_S2_PhPT0_PKm.uses_flat_scratch, 0
	.set _Z27bitPackConfigFinalizeKernelIccEvPKT_S2_PhPT0_PKm.has_dyn_sized_stack, 0
	.set _Z27bitPackConfigFinalizeKernelIccEvPKT_S2_PhPT0_PKm.has_recursion, 0
	.set _Z27bitPackConfigFinalizeKernelIccEvPKT_S2_PhPT0_PKm.has_indirect_call, 0
	.section	.AMDGPU.csdata,"",@progbits
; Kernel info:
; codeLenInByte = 1872
; TotalNumSgprs: 20
; NumVgprs: 16
; ScratchSize: 0
; MemoryBound: 0
; FloatMode: 240
; IeeeMode: 1
; LDSByteSize: 512 bytes/workgroup (compile time only)
; SGPRBlocks: 2
; VGPRBlocks: 3
; NumSGPRsForWavesPerEU: 20
; NumVGPRsForWavesPerEU: 16
; Occupancy: 10
; WaveLimiterHint : 0
; COMPUTE_PGM_RSRC2:SCRATCH_EN: 0
; COMPUTE_PGM_RSRC2:USER_SGPR: 6
; COMPUTE_PGM_RSRC2:TRAP_HANDLER: 0
; COMPUTE_PGM_RSRC2:TGID_X_EN: 1
; COMPUTE_PGM_RSRC2:TGID_Y_EN: 0
; COMPUTE_PGM_RSRC2:TGID_Z_EN: 0
; COMPUTE_PGM_RSRC2:TIDIG_COMP_CNT: 0
	.section	.text._Z13bitPackKernelIcjEvPKhPKT_PT0_S4_PKm,"axG",@progbits,_Z13bitPackKernelIcjEvPKhPKT_PT0_S4_PKm,comdat
	.protected	_Z13bitPackKernelIcjEvPKhPKT_PT0_S4_PKm ; -- Begin function _Z13bitPackKernelIcjEvPKhPKT_PT0_S4_PKm
	.globl	_Z13bitPackKernelIcjEvPKhPKT_PT0_S4_PKm
	.p2align	8
	.type	_Z13bitPackKernelIcjEvPKhPKT_PT0_S4_PKm,@function
_Z13bitPackKernelIcjEvPKhPKT_PT0_S4_PKm: ; @_Z13bitPackKernelIcjEvPKhPKT_PT0_S4_PKm
; %bb.0:
	s_load_dwordx2 s[0:1], s[4:5], 0x20
	s_mov_b32 s16, 0
	s_mov_b32 s9, s16
	s_waitcnt lgkmcnt(0)
	s_load_dwordx2 s[2:3], s[0:1], 0x0
	s_waitcnt lgkmcnt(0)
	s_lshr_b64 s[0:1], s[2:3], 8
	s_and_b32 s8, s2, 0xff
	s_cmp_lg_u64 s[8:9], 0
	s_cselect_b64 s[8:9], -1, 0
	s_cmp_lg_u64 s[8:9], 0
	s_addc_u32 s7, s0, 0
	s_cmp_ge_i32 s6, s7
	s_cbranch_scc1 .LBB2_32
; %bb.1:
	s_load_dwordx8 s[8:15], s[4:5], 0x0
	v_mov_b32_e32 v1, 0
	v_mov_b32_e32 v4, 0x4f800000
	;; [unrolled: 1-line block ×3, first 2 shown]
	s_waitcnt lgkmcnt(0)
	global_load_ubyte v2, v1, s[8:9]
	global_load_ubyte v11, v1, s[10:11]
	s_load_dword s21, s[4:5], 0x28
	s_bfe_i64 s[4:5], s[2:3], 0x200000
	s_waitcnt vmcnt(1)
	v_readfirstlane_b32 s20, v2
	v_cvt_f32_u32_e32 v2, s20
	v_cvt_f32_u32_e32 v3, s20
	s_sub_i32 s22, 0, s20
	v_rcp_iflag_f32_e32 v2, v2
	v_mac_f32_e32 v3, 0, v4
	v_rcp_f32_e32 v3, v3
	v_mul_f32_e32 v2, 0x4f7ffffe, v2
	v_cvt_u32_f32_e32 v12, v2
	v_mul_f32_e32 v2, 0x5f7ffffc, v3
	v_mul_f32_e32 v4, 0x2f800000, v2
	v_trunc_f32_e32 v4, v4
	v_mul_lo_u32 v3, s22, v12
	v_mac_f32_e32 v2, 0xcf800000, v4
	v_cvt_u32_f32_e32 v13, v4
	v_cvt_u32_f32_e32 v14, v2
	v_mul_hi_u32 v3, v12, v3
	v_add_u32_e32 v15, v12, v3
	s_branch .LBB2_3
.LBB2_2:                                ;   in Loop: Header=BB2_3 Depth=1
	s_or_b64 exec, exec, s[0:1]
	s_waitcnt lgkmcnt(0)
	s_add_i32 s6, s21, s6
	s_cmp_ge_i32 s6, s7
	s_cbranch_scc1 .LBB2_32
.LBB2_3:                                ; =>This Loop Header: Depth=1
                                        ;     Child Loop BB2_19 Depth 2
                                        ;       Child Loop BB2_23 Depth 3
	s_lshl_b32 s8, s6, 8
	v_add_u32_e32 v3, s8, v0
	v_ashrrev_i32_e32 v4, 31, v3
	v_lshlrev_b64 v[5:6], 5, v[3:4]
                                        ; implicit-def: $vgpr7_vgpr8
	v_mov_b32_e32 v2, v6
	v_cmp_ne_u64_e32 vcc, 0, v[1:2]
	s_and_saveexec_b64 s[0:1], vcc
	s_xor_b64 s[10:11], exec, s[0:1]
	s_cbranch_execz .LBB2_5
; %bb.4:                                ;   in Loop: Header=BB2_3 Depth=1
	s_sub_u32 s9, 0, s20
	v_readfirstlane_b32 s0, v14
	v_readfirstlane_b32 s19, v13
	s_subb_u32 s17, 0, 0
	s_mul_hi_u32 s18, s9, s0
	s_mul_i32 s23, s9, s19
	s_mul_i32 s1, s17, s0
	s_add_i32 s18, s18, s23
	s_add_i32 s18, s18, s1
	s_mul_i32 s24, s9, s0
	s_mul_i32 s23, s0, s18
	s_mul_hi_u32 s25, s0, s24
	s_mul_hi_u32 s1, s0, s18
	s_add_u32 s23, s25, s23
	s_addc_u32 s1, 0, s1
	s_mul_hi_u32 s26, s19, s24
	s_mul_i32 s24, s19, s24
	s_add_u32 s23, s23, s24
	s_mul_hi_u32 s25, s19, s18
	s_addc_u32 s1, s1, s26
	s_addc_u32 s23, s25, 0
	s_mul_i32 s18, s19, s18
	s_add_u32 s1, s1, s18
	s_addc_u32 s18, 0, s23
	s_add_u32 s23, s0, s1
	s_cselect_b64 s[0:1], -1, 0
	s_cmp_lg_u64 s[0:1], 0
	s_addc_u32 s18, s19, s18
	s_mul_i32 s0, s9, s18
	s_mul_hi_u32 s1, s9, s23
	s_add_i32 s0, s1, s0
	s_mul_i32 s17, s17, s23
	s_add_i32 s0, s0, s17
	s_mul_i32 s9, s9, s23
	s_mul_hi_u32 s17, s18, s9
	s_mul_i32 s19, s18, s9
	s_mul_i32 s25, s23, s0
	s_mul_hi_u32 s9, s23, s9
	s_mul_hi_u32 s24, s23, s0
	s_add_u32 s9, s9, s25
	s_addc_u32 s24, 0, s24
	s_add_u32 s9, s9, s19
	s_mul_hi_u32 s1, s18, s0
	s_addc_u32 s9, s24, s17
	s_addc_u32 s1, s1, 0
	s_mul_i32 s0, s18, s0
	s_add_u32 s0, s9, s0
	s_addc_u32 s9, 0, s1
	s_add_u32 s17, s23, s0
	s_cselect_b64 s[0:1], -1, 0
	s_cmp_lg_u64 s[0:1], 0
	s_addc_u32 s9, s18, s9
	v_mad_u64_u32 v[7:8], s[0:1], v5, s9, 0
	v_mul_hi_u32 v2, v5, s17
	v_mad_u64_u32 v[9:10], s[0:1], v6, s9, 0
	v_add_co_u32_e32 v2, vcc, v2, v7
	v_addc_co_u32_e32 v17, vcc, 0, v8, vcc
	v_mad_u64_u32 v[7:8], s[0:1], v6, s17, 0
	v_add_co_u32_e32 v2, vcc, v2, v7
	v_addc_co_u32_e32 v2, vcc, v17, v8, vcc
	v_addc_co_u32_e32 v7, vcc, 0, v10, vcc
	v_add_co_u32_e32 v10, vcc, v2, v9
	v_addc_co_u32_e32 v17, vcc, 0, v7, vcc
	v_mad_u64_u32 v[7:8], s[0:1], s20, v10, 0
	v_mov_b32_e32 v2, v8
	v_mad_u64_u32 v[8:9], s[0:1], s20, v17, v[2:3]
	v_sub_co_u32_e32 v2, vcc, v5, v7
	v_subb_co_u32_e32 v7, vcc, v6, v8, vcc
	v_subrev_co_u32_e32 v8, vcc, s20, v2
	v_subbrev_co_u32_e32 v9, vcc, 0, v7, vcc
	v_cmp_le_u32_e32 vcc, s20, v8
	v_cndmask_b32_e64 v8, 0, -1, vcc
	v_cmp_eq_u32_e32 vcc, 0, v9
	v_cndmask_b32_e32 v8, -1, v8, vcc
	v_add_co_u32_e32 v9, vcc, 2, v10
	v_addc_co_u32_e32 v18, vcc, 0, v17, vcc
	v_add_co_u32_e32 v19, vcc, 1, v10
	v_cmp_le_u32_e64 s[0:1], s20, v2
	v_addc_co_u32_e32 v20, vcc, 0, v17, vcc
	v_cndmask_b32_e64 v2, 0, -1, s[0:1]
	v_cmp_eq_u32_e64 s[0:1], 0, v7
	v_cmp_ne_u32_e32 vcc, 0, v8
	v_cndmask_b32_e64 v2, -1, v2, s[0:1]
	v_cndmask_b32_e32 v8, v20, v18, vcc
	v_cmp_ne_u32_e64 s[0:1], 0, v2
	v_cndmask_b32_e32 v2, v19, v9, vcc
	v_cndmask_b32_e64 v8, v17, v8, s[0:1]
	v_cndmask_b32_e64 v7, v10, v2, s[0:1]
.LBB2_5:                                ;   in Loop: Header=BB2_3 Depth=1
	s_andn2_saveexec_b64 s[0:1], s[10:11]
	s_cbranch_execz .LBB2_7
; %bb.6:                                ;   in Loop: Header=BB2_3 Depth=1
	v_mul_hi_u32 v2, v5, v15
	v_mul_lo_u32 v7, v2, s20
	v_add_u32_e32 v8, 1, v2
	v_sub_u32_e32 v7, v5, v7
	v_subrev_u32_e32 v9, s20, v7
	v_cmp_le_u32_e32 vcc, s20, v7
	v_cndmask_b32_e32 v7, v7, v9, vcc
	v_cndmask_b32_e32 v2, v2, v8, vcc
	v_add_u32_e32 v8, 1, v2
	v_cmp_le_u32_e32 vcc, s20, v7
	v_cndmask_b32_e32 v7, v2, v8, vcc
	v_mov_b32_e32 v8, v1
.LBB2_7:                                ;   in Loop: Header=BB2_3 Depth=1
	s_or_b64 exec, exec, s[0:1]
	v_add_co_u32_e32 v17, vcc, 32, v5
	v_addc_co_u32_e32 v2, vcc, 0, v6, vcc
	v_cmp_ne_u64_e32 vcc, 0, v[1:2]
                                        ; implicit-def: $vgpr9_vgpr10
	s_and_saveexec_b64 s[0:1], vcc
	s_xor_b64 s[10:11], exec, s[0:1]
	s_cbranch_execz .LBB2_9
; %bb.8:                                ;   in Loop: Header=BB2_3 Depth=1
	s_sub_u32 s9, 0, s20
	v_readfirstlane_b32 s0, v14
	v_readfirstlane_b32 s19, v13
	s_subb_u32 s17, 0, 0
	s_mul_hi_u32 s18, s9, s0
	s_mul_i32 s23, s9, s19
	s_mul_i32 s1, s17, s0
	s_add_i32 s18, s18, s23
	s_add_i32 s18, s18, s1
	s_mul_i32 s24, s9, s0
	s_mul_i32 s23, s0, s18
	s_mul_hi_u32 s25, s0, s24
	s_mul_hi_u32 s1, s0, s18
	s_add_u32 s23, s25, s23
	s_addc_u32 s1, 0, s1
	s_mul_hi_u32 s26, s19, s24
	s_mul_i32 s24, s19, s24
	s_add_u32 s23, s23, s24
	s_mul_hi_u32 s25, s19, s18
	s_addc_u32 s1, s1, s26
	s_addc_u32 s23, s25, 0
	s_mul_i32 s18, s19, s18
	s_add_u32 s1, s1, s18
	s_addc_u32 s18, 0, s23
	s_add_u32 s23, s0, s1
	s_cselect_b64 s[0:1], -1, 0
	s_cmp_lg_u64 s[0:1], 0
	s_addc_u32 s18, s19, s18
	s_mul_i32 s0, s9, s18
	s_mul_hi_u32 s1, s9, s23
	s_add_i32 s0, s1, s0
	s_mul_i32 s17, s17, s23
	s_add_i32 s0, s0, s17
	s_mul_i32 s9, s9, s23
	s_mul_hi_u32 s17, s18, s9
	s_mul_i32 s19, s18, s9
	s_mul_i32 s25, s23, s0
	s_mul_hi_u32 s9, s23, s9
	s_mul_hi_u32 s24, s23, s0
	s_add_u32 s9, s9, s25
	s_addc_u32 s24, 0, s24
	s_add_u32 s9, s9, s19
	s_mul_hi_u32 s1, s18, s0
	s_addc_u32 s9, s24, s17
	s_addc_u32 s1, s1, 0
	s_mul_i32 s0, s18, s0
	s_add_u32 s0, s9, s0
	s_addc_u32 s9, 0, s1
	s_add_u32 s17, s23, s0
	s_cselect_b64 s[0:1], -1, 0
	s_cmp_lg_u64 s[0:1], 0
	s_addc_u32 s9, s18, s9
	v_mad_u64_u32 v[9:10], s[0:1], v17, s9, 0
	v_mul_hi_u32 v6, v17, s17
	v_mad_u64_u32 v[18:19], s[0:1], v2, s9, 0
	v_add_co_u32_e32 v6, vcc, v6, v9
	v_addc_co_u32_e32 v20, vcc, 0, v10, vcc
	v_mad_u64_u32 v[9:10], s[0:1], v2, s17, 0
	v_add_co_u32_e32 v6, vcc, v6, v9
	v_addc_co_u32_e32 v6, vcc, v20, v10, vcc
	v_addc_co_u32_e32 v9, vcc, 0, v19, vcc
	v_add_co_u32_e32 v20, vcc, v6, v18
	v_addc_co_u32_e32 v21, vcc, 0, v9, vcc
	v_mad_u64_u32 v[9:10], s[0:1], s20, v20, 0
	v_mov_b32_e32 v6, v10
	v_mad_u64_u32 v[18:19], s[0:1], s20, v21, v[6:7]
	v_sub_co_u32_e32 v6, vcc, v17, v9
	v_subb_co_u32_e32 v9, vcc, v2, v18, vcc
	v_subrev_co_u32_e32 v10, vcc, s20, v6
	v_subbrev_co_u32_e32 v18, vcc, 0, v9, vcc
	v_cmp_le_u32_e32 vcc, s20, v10
	v_cndmask_b32_e64 v10, 0, -1, vcc
	v_cmp_eq_u32_e32 vcc, 0, v18
	v_cndmask_b32_e32 v10, -1, v10, vcc
	v_add_co_u32_e32 v18, vcc, 2, v20
	v_addc_co_u32_e32 v19, vcc, 0, v21, vcc
	v_add_co_u32_e32 v22, vcc, 1, v20
	v_cmp_le_u32_e64 s[0:1], s20, v6
	v_addc_co_u32_e32 v23, vcc, 0, v21, vcc
	v_cndmask_b32_e64 v6, 0, -1, s[0:1]
	v_cmp_eq_u32_e64 s[0:1], 0, v9
	v_cmp_ne_u32_e32 vcc, 0, v10
	v_cndmask_b32_e64 v6, -1, v6, s[0:1]
	v_cndmask_b32_e32 v10, v23, v19, vcc
	v_cmp_ne_u32_e64 s[0:1], 0, v6
	v_cndmask_b32_e32 v6, v22, v18, vcc
	v_cndmask_b32_e64 v10, v21, v10, s[0:1]
	v_cndmask_b32_e64 v9, v20, v6, s[0:1]
.LBB2_9:                                ;   in Loop: Header=BB2_3 Depth=1
	s_andn2_saveexec_b64 s[0:1], s[10:11]
	s_cbranch_execz .LBB2_11
; %bb.10:                               ;   in Loop: Header=BB2_3 Depth=1
	v_mul_hi_u32 v6, v17, v15
	v_mul_lo_u32 v9, v6, s20
	v_add_u32_e32 v10, 1, v6
	v_sub_u32_e32 v9, v17, v9
	v_subrev_u32_e32 v18, s20, v9
	v_cmp_le_u32_e32 vcc, s20, v9
	v_cndmask_b32_e32 v9, v9, v18, vcc
	v_cndmask_b32_e32 v6, v6, v10, vcc
	v_add_u32_e32 v10, 1, v6
	v_cmp_le_u32_e32 vcc, s20, v9
	v_cndmask_b32_e32 v9, v6, v10, vcc
	v_mov_b32_e32 v10, v1
.LBB2_11:                               ;   in Loop: Header=BB2_3 Depth=1
	s_or_b64 exec, exec, s[0:1]
	s_ashr_i32 s9, s8, 31
	s_lshl_b64 s[10:11], s[8:9], 5
	s_mov_b32 s17, s11
	s_cmp_lg_u64 s[16:17], 0
	s_cbranch_scc0 .LBB2_30
; %bb.12:                               ;   in Loop: Header=BB2_3 Depth=1
	s_sub_u32 s9, 0, s20
	v_readfirstlane_b32 s0, v14
	v_readfirstlane_b32 s19, v13
	s_subb_u32 s17, 0, 0
	s_mul_hi_u32 s18, s9, s0
	s_mul_i32 s23, s9, s19
	s_mul_i32 s1, s17, s0
	s_add_i32 s18, s18, s23
	s_add_i32 s18, s18, s1
	s_mul_i32 s24, s9, s0
	s_mul_i32 s23, s0, s18
	s_mul_hi_u32 s25, s0, s24
	s_mul_hi_u32 s1, s0, s18
	s_add_u32 s23, s25, s23
	s_addc_u32 s1, 0, s1
	s_mul_hi_u32 s26, s19, s24
	s_mul_i32 s24, s19, s24
	s_add_u32 s23, s23, s24
	s_mul_hi_u32 s25, s19, s18
	s_addc_u32 s1, s1, s26
	s_addc_u32 s23, s25, 0
	s_mul_i32 s18, s19, s18
	s_add_u32 s1, s1, s18
	s_addc_u32 s18, 0, s23
	s_add_u32 s23, s0, s1
	s_cselect_b64 s[0:1], -1, 0
	s_cmp_lg_u64 s[0:1], 0
	s_addc_u32 s18, s19, s18
	s_mul_i32 s0, s9, s18
	s_mul_hi_u32 s1, s9, s23
	s_add_i32 s0, s1, s0
	s_mul_i32 s17, s17, s23
	s_add_i32 s0, s0, s17
	s_mul_i32 s9, s9, s23
	s_mul_hi_u32 s17, s18, s9
	s_mul_i32 s19, s18, s9
	s_mul_i32 s25, s23, s0
	s_mul_hi_u32 s9, s23, s9
	s_mul_hi_u32 s24, s23, s0
	s_add_u32 s9, s9, s25
	s_addc_u32 s24, 0, s24
	s_add_u32 s9, s9, s19
	s_mul_hi_u32 s1, s18, s0
	s_addc_u32 s9, s24, s17
	s_addc_u32 s1, s1, 0
	s_mul_i32 s0, s18, s0
	s_add_u32 s0, s9, s0
	s_addc_u32 s9, 0, s1
	s_add_u32 s17, s23, s0
	s_cselect_b64 s[0:1], -1, 0
	s_cmp_lg_u64 s[0:1], 0
	s_addc_u32 s0, s18, s9
	s_mul_i32 s9, s10, s0
	s_mul_hi_u32 s18, s10, s17
	s_mul_hi_u32 s1, s10, s0
	s_add_u32 s9, s18, s9
	s_addc_u32 s1, 0, s1
	s_mul_hi_u32 s19, s11, s17
	s_mul_i32 s17, s11, s17
	s_add_u32 s9, s9, s17
	s_mul_hi_u32 s18, s11, s0
	s_addc_u32 s1, s1, s19
	s_addc_u32 s9, s18, 0
	s_mul_i32 s0, s11, s0
	s_add_u32 s17, s1, s0
	s_addc_u32 s9, 0, s9
	s_add_u32 s18, s17, 1
	s_addc_u32 s19, s9, 0
	s_add_u32 s23, s17, 2
	s_mul_i32 s0, s20, s9
	s_mul_hi_u32 s1, s20, s17
	s_addc_u32 s24, s9, 0
	s_add_i32 s25, s1, s0
	s_mul_i32 s0, s20, s17
	s_sub_u32 s26, s10, s0
	s_cselect_b64 s[0:1], -1, 0
	s_cmp_lg_u64 s[0:1], 0
	s_subb_u32 s11, s11, s25
	s_sub_u32 s25, s26, s20
	s_cselect_b64 s[0:1], -1, 0
	s_cmp_lg_u64 s[0:1], 0
	s_subb_u32 s0, s11, 0
	s_cmp_ge_u32 s25, s20
	s_cselect_b32 s1, -1, 0
	s_cmp_eq_u32 s0, 0
	s_cselect_b32 s0, s1, -1
	s_cmp_lg_u32 s0, 0
	s_cselect_b32 s0, s23, s18
	s_cselect_b32 s1, s24, s19
	s_cmp_ge_u32 s26, s20
	s_cselect_b32 s18, -1, 0
	s_cmp_eq_u32 s11, 0
	s_cselect_b32 s11, s18, -1
	s_cmp_lg_u32 s11, 0
	s_cselect_b32 s1, s1, s9
	s_cselect_b32 s0, s0, s17
	s_cbranch_execnz .LBB2_14
.LBB2_13:                               ;   in Loop: Header=BB2_3 Depth=1
	v_readfirstlane_b32 s0, v12
	s_mul_i32 s1, s22, s0
	s_mul_hi_u32 s1, s0, s1
	s_add_i32 s0, s0, s1
	s_mul_hi_u32 s0, s10, s0
	s_mul_i32 s9, s0, s20
	s_sub_i32 s9, s10, s9
	s_add_i32 s1, s0, 1
	s_sub_i32 s10, s9, s20
	s_cmp_ge_u32 s9, s20
	s_cselect_b32 s0, s1, s0
	s_cselect_b32 s9, s10, s9
	s_add_i32 s1, s0, 1
	s_cmp_ge_u32 s9, s20
	s_cselect_b32 s0, s1, s0
	s_mov_b32 s1, s16
.LBB2_14:                               ;   in Loop: Header=BB2_3 Depth=1
	s_addk_i32 s8, 0x100
	s_ashr_i32 s9, s8, 31
	s_lshl_b64 s[8:9], s[8:9], 5
	s_mov_b32 s17, s9
	s_cmp_lg_u64 s[16:17], 0
	s_cbranch_scc0 .LBB2_31
; %bb.15:                               ;   in Loop: Header=BB2_3 Depth=1
	s_sub_u32 s17, 0, s20
	v_readfirstlane_b32 s10, v14
	v_readfirstlane_b32 s23, v13
	s_subb_u32 s18, 0, 0
	s_mul_hi_u32 s19, s17, s10
	s_mul_i32 s24, s17, s23
	s_mul_i32 s11, s18, s10
	s_add_i32 s19, s19, s24
	s_add_i32 s19, s19, s11
	s_mul_i32 s25, s17, s10
	s_mul_i32 s24, s10, s19
	s_mul_hi_u32 s26, s10, s25
	s_mul_hi_u32 s11, s10, s19
	s_add_u32 s24, s26, s24
	s_addc_u32 s11, 0, s11
	s_mul_hi_u32 s27, s23, s25
	s_mul_i32 s25, s23, s25
	s_add_u32 s24, s24, s25
	s_mul_hi_u32 s26, s23, s19
	s_addc_u32 s11, s11, s27
	s_addc_u32 s24, s26, 0
	s_mul_i32 s19, s23, s19
	s_add_u32 s11, s11, s19
	s_addc_u32 s19, 0, s24
	s_add_u32 s24, s10, s11
	s_cselect_b64 s[10:11], -1, 0
	s_cmp_lg_u64 s[10:11], 0
	s_addc_u32 s19, s23, s19
	s_mul_i32 s10, s17, s19
	s_mul_hi_u32 s11, s17, s24
	s_add_i32 s10, s11, s10
	s_mul_i32 s18, s18, s24
	s_add_i32 s10, s10, s18
	s_mul_i32 s17, s17, s24
	s_mul_hi_u32 s18, s19, s17
	s_mul_i32 s23, s19, s17
	s_mul_i32 s26, s24, s10
	s_mul_hi_u32 s17, s24, s17
	s_mul_hi_u32 s25, s24, s10
	s_add_u32 s17, s17, s26
	s_addc_u32 s25, 0, s25
	s_add_u32 s17, s17, s23
	s_mul_hi_u32 s11, s19, s10
	s_addc_u32 s17, s25, s18
	s_addc_u32 s11, s11, 0
	s_mul_i32 s10, s19, s10
	s_add_u32 s10, s17, s10
	s_addc_u32 s17, 0, s11
	s_add_u32 s18, s24, s10
	s_cselect_b64 s[10:11], -1, 0
	s_cmp_lg_u64 s[10:11], 0
	s_addc_u32 s10, s19, s17
	s_mul_i32 s17, s8, s10
	s_mul_hi_u32 s19, s8, s18
	s_mul_hi_u32 s11, s8, s10
	s_add_u32 s17, s19, s17
	s_addc_u32 s11, 0, s11
	s_mul_hi_u32 s23, s9, s18
	s_mul_i32 s18, s9, s18
	s_add_u32 s17, s17, s18
	s_mul_hi_u32 s19, s9, s10
	s_addc_u32 s11, s11, s23
	s_addc_u32 s17, s19, 0
	s_mul_i32 s10, s9, s10
	s_add_u32 s18, s11, s10
	s_addc_u32 s17, 0, s17
	s_add_u32 s19, s18, 1
	s_addc_u32 s23, s17, 0
	s_add_u32 s24, s18, 2
	s_mul_i32 s10, s20, s17
	s_mul_hi_u32 s11, s20, s18
	s_addc_u32 s25, s17, 0
	s_add_i32 s26, s11, s10
	s_mul_i32 s10, s20, s18
	s_sub_u32 s27, s8, s10
	s_cselect_b64 s[10:11], -1, 0
	s_cmp_lg_u64 s[10:11], 0
	s_subb_u32 s26, s9, s26
	s_sub_u32 s28, s27, s20
	s_cselect_b64 s[10:11], -1, 0
	s_cmp_lg_u64 s[10:11], 0
	s_subb_u32 s10, s26, 0
	s_cmp_ge_u32 s28, s20
	s_cselect_b32 s11, -1, 0
	s_cmp_eq_u32 s10, 0
	s_cselect_b32 s10, s11, -1
	s_cmp_lg_u32 s10, 0
	s_cselect_b32 s10, s24, s19
	s_cselect_b32 s11, s25, s23
	s_cmp_ge_u32 s27, s20
	s_cselect_b32 s19, -1, 0
	s_cmp_eq_u32 s26, 0
	s_cselect_b32 s19, s19, -1
	s_cmp_lg_u32 s19, 0
	s_cselect_b32 s11, s11, s17
	s_cselect_b32 s10, s10, s18
	s_cbranch_execnz .LBB2_17
.LBB2_16:                               ;   in Loop: Header=BB2_3 Depth=1
	v_readfirstlane_b32 s10, v12
	s_mul_i32 s11, s22, s10
	s_mul_hi_u32 s11, s10, s11
	s_add_i32 s10, s10, s11
	s_mul_hi_u32 s10, s8, s10
	s_mul_i32 s17, s10, s20
	s_sub_i32 s17, s8, s17
	s_add_i32 s11, s10, 1
	s_sub_i32 s18, s17, s20
	s_cmp_ge_u32 s17, s20
	s_cselect_b32 s10, s11, s10
	s_cselect_b32 s17, s18, s17
	s_add_i32 s11, s10, 1
	s_cmp_ge_u32 s17, s20
	s_cselect_b32 s10, s11, s10
	s_mov_b32 s11, s16
.LBB2_17:                               ;   in Loop: Header=BB2_3 Depth=1
	s_and_b32 s17, s0, 0xffffff00
	v_mov_b32_e32 v18, s17
	v_mov_b32_e32 v19, s1
	v_cmp_lt_u64_e32 vcc, s[4:5], v[18:19]
	v_mov_b32_e32 v18, s4
	s_and_b64 s[0:1], vcc, exec
	s_mul_i32 s0, s11, s20
	s_mul_hi_u32 s1, s10, s20
	s_cselect_b32 s17, s4, s17
	s_add_i32 s1, s1, s0
	s_mul_i32 s0, s10, s20
	s_sub_u32 s0, s8, s0
	s_subb_u32 s1, s9, s1
	v_cmp_lt_u64_e32 vcc, s[4:5], v[7:8]
	s_cmp_lg_u64 s[0:1], 0
	s_cselect_b64 s[0:1], -1, 0
	v_cndmask_b32_e32 v6, v7, v18, vcc
	v_cndmask_b32_e64 v7, 0, 1, s[0:1]
	v_mov_b32_e32 v8, s11
	v_add_co_u32_e32 v19, vcc, s10, v7
	v_addc_co_u32_e32 v20, vcc, 0, v8, vcc
	v_and_b32_e32 v7, 0xff, v19
	v_mov_b32_e32 v8, v1
	v_cmp_eq_u64_e32 vcc, 0, v[7:8]
	v_cndmask_b32_e64 v7, v16, 0, vcc
	v_add_co_u32_e32 v7, vcc, v7, v19
	v_addc_co_u32_e32 v8, vcc, 0, v20, vcc
	v_and_b32_e32 v7, 0xffffff00, v7
	v_cmp_lt_u64_e32 vcc, s[4:5], v[7:8]
	v_cndmask_b32_e32 v19, v7, v18, vcc
	v_cmp_ge_i32_e32 vcc, s17, v19
	v_mov_b32_e32 v18, 0
	s_cbranch_vccnz .LBB2_28
; %bb.18:                               ;   in Loop: Header=BB2_3 Depth=1
	v_mad_u64_u32 v[7:8], s[0:1], v9, s20, 0
	v_mov_b32_e32 v18, 0
	v_mad_u64_u32 v[20:21], s[0:1], v10, s20, v[8:9]
	v_sub_co_u32_e32 v7, vcc, v17, v7
	v_subb_co_u32_e32 v8, vcc, v2, v20, vcc
	v_cmp_ne_u64_e32 vcc, 0, v[7:8]
	v_cndmask_b32_e64 v2, 0, 1, vcc
	v_add_co_u32_e32 v7, vcc, v9, v2
	v_addc_co_u32_e32 v8, vcc, 0, v10, vcc
	v_cmp_lt_u64_e32 vcc, s[4:5], v[7:8]
	v_mov_b32_e32 v2, s4
	v_cndmask_b32_e32 v2, v7, v2, vcc
.LBB2_19:                               ;   Parent Loop BB2_3 Depth=1
                                        ; =>  This Loop Header: Depth=2
                                        ;       Child Loop BB2_23 Depth 3
	v_add_u32_e32 v7, s17, v0
	v_ashrrev_i32_e32 v8, 31, v7
	v_cmp_gt_u64_e32 vcc, s[2:3], v[7:8]
	s_waitcnt vmcnt(0) lgkmcnt(0)
	s_barrier
	s_and_saveexec_b64 s[0:1], vcc
	s_cbranch_execz .LBB2_21
; %bb.20:                               ;   in Loop: Header=BB2_19 Depth=2
	v_mov_b32_e32 v9, s15
	v_add_co_u32_e32 v7, vcc, s14, v7
	v_addc_co_u32_e32 v8, vcc, v9, v8, vcc
	global_load_ubyte v7, v[7:8], off
	s_waitcnt vmcnt(0)
	v_sub_u16_e32 v7, v7, v11
	ds_write_b8 v0, v7
.LBB2_21:                               ;   in Loop: Header=BB2_19 Depth=2
	s_or_b64 exec, exec, s[0:1]
	s_add_i32 s10, s17, 0x100
	v_max_i32_e32 v7, s17, v6
	v_min_i32_e32 v8, s10, v2
	v_cmp_lt_i32_e32 vcc, v7, v8
	s_waitcnt lgkmcnt(0)
	s_barrier
	s_and_saveexec_b64 s[0:1], vcc
	s_cbranch_execz .LBB2_25
; %bb.22:                               ;   in Loop: Header=BB2_19 Depth=2
	s_mov_b64 s[8:9], 0
.LBB2_23:                               ;   Parent Loop BB2_3 Depth=1
                                        ;     Parent Loop BB2_19 Depth=2
                                        ; =>    This Inner Loop Header: Depth=3
	v_subrev_u32_e32 v9, s17, v7
	v_mul_lo_u32 v10, v7, s20
	ds_read_u8 v9, v9
	v_add_u32_e32 v7, 1, v7
	v_cmp_ge_i32_e32 vcc, v7, v8
	v_sub_u32_e32 v10, v10, v5
	v_sub_u32_e32 v17, 0, v10
	s_or_b64 s[8:9], vcc, s[8:9]
	s_waitcnt lgkmcnt(0)
	v_lshlrev_b32_e32 v20, v10, v9
	v_lshrrev_b32_e32 v9, v17, v9
	v_cmp_lt_i32_e32 vcc, 0, v10
	v_cndmask_b32_e32 v9, v9, v20, vcc
	v_or_b32_e32 v18, v9, v18
	s_andn2_b64 exec, exec, s[8:9]
	s_cbranch_execnz .LBB2_23
; %bb.24:                               ;   in Loop: Header=BB2_19 Depth=2
	s_or_b64 exec, exec, s[8:9]
.LBB2_25:                               ;   in Loop: Header=BB2_19 Depth=2
	s_or_b64 exec, exec, s[0:1]
; %bb.26:                               ;   in Loop: Header=BB2_19 Depth=2
	v_cmp_lt_i32_e32 vcc, s10, v19
	s_cbranch_vccz .LBB2_28
; %bb.27:                               ;   in Loop: Header=BB2_19 Depth=2
	s_mov_b32 s17, s10
	s_branch .LBB2_19
.LBB2_28:                               ;   in Loop: Header=BB2_3 Depth=1
	v_ashrrev_i32_e32 v7, 31, v6
	v_cmp_gt_u64_e32 vcc, s[2:3], v[6:7]
	s_and_saveexec_b64 s[0:1], vcc
	s_cbranch_execz .LBB2_2
; %bb.29:                               ;   in Loop: Header=BB2_3 Depth=1
	v_lshlrev_b64 v[2:3], 2, v[3:4]
	v_mov_b32_e32 v4, s13
	v_add_co_u32_e32 v2, vcc, s12, v2
	v_addc_co_u32_e32 v3, vcc, v4, v3, vcc
	global_store_dword v[2:3], v18, off
	s_branch .LBB2_2
.LBB2_30:                               ;   in Loop: Header=BB2_3 Depth=1
                                        ; implicit-def: $sgpr0_sgpr1
	s_branch .LBB2_13
.LBB2_31:                               ;   in Loop: Header=BB2_3 Depth=1
                                        ; implicit-def: $sgpr10_sgpr11
	s_branch .LBB2_16
.LBB2_32:
	s_endpgm
	.section	.rodata,"a",@progbits
	.p2align	6, 0x0
	.amdhsa_kernel _Z13bitPackKernelIcjEvPKhPKT_PT0_S4_PKm
		.amdhsa_group_segment_fixed_size 256
		.amdhsa_private_segment_fixed_size 0
		.amdhsa_kernarg_size 296
		.amdhsa_user_sgpr_count 6
		.amdhsa_user_sgpr_private_segment_buffer 1
		.amdhsa_user_sgpr_dispatch_ptr 0
		.amdhsa_user_sgpr_queue_ptr 0
		.amdhsa_user_sgpr_kernarg_segment_ptr 1
		.amdhsa_user_sgpr_dispatch_id 0
		.amdhsa_user_sgpr_flat_scratch_init 0
		.amdhsa_user_sgpr_private_segment_size 0
		.amdhsa_uses_dynamic_stack 0
		.amdhsa_system_sgpr_private_segment_wavefront_offset 0
		.amdhsa_system_sgpr_workgroup_id_x 1
		.amdhsa_system_sgpr_workgroup_id_y 0
		.amdhsa_system_sgpr_workgroup_id_z 0
		.amdhsa_system_sgpr_workgroup_info 0
		.amdhsa_system_vgpr_workitem_id 0
		.amdhsa_next_free_vgpr 24
		.amdhsa_next_free_sgpr 29
		.amdhsa_reserve_vcc 1
		.amdhsa_reserve_flat_scratch 0
		.amdhsa_float_round_mode_32 0
		.amdhsa_float_round_mode_16_64 0
		.amdhsa_float_denorm_mode_32 3
		.amdhsa_float_denorm_mode_16_64 3
		.amdhsa_dx10_clamp 1
		.amdhsa_ieee_mode 1
		.amdhsa_fp16_overflow 0
		.amdhsa_exception_fp_ieee_invalid_op 0
		.amdhsa_exception_fp_denorm_src 0
		.amdhsa_exception_fp_ieee_div_zero 0
		.amdhsa_exception_fp_ieee_overflow 0
		.amdhsa_exception_fp_ieee_underflow 0
		.amdhsa_exception_fp_ieee_inexact 0
		.amdhsa_exception_int_div_zero 0
	.end_amdhsa_kernel
	.section	.text._Z13bitPackKernelIcjEvPKhPKT_PT0_S4_PKm,"axG",@progbits,_Z13bitPackKernelIcjEvPKhPKT_PT0_S4_PKm,comdat
.Lfunc_end2:
	.size	_Z13bitPackKernelIcjEvPKhPKT_PT0_S4_PKm, .Lfunc_end2-_Z13bitPackKernelIcjEvPKhPKT_PT0_S4_PKm
                                        ; -- End function
	.set _Z13bitPackKernelIcjEvPKhPKT_PT0_S4_PKm.num_vgpr, 24
	.set _Z13bitPackKernelIcjEvPKhPKT_PT0_S4_PKm.num_agpr, 0
	.set _Z13bitPackKernelIcjEvPKhPKT_PT0_S4_PKm.numbered_sgpr, 29
	.set _Z13bitPackKernelIcjEvPKhPKT_PT0_S4_PKm.num_named_barrier, 0
	.set _Z13bitPackKernelIcjEvPKhPKT_PT0_S4_PKm.private_seg_size, 0
	.set _Z13bitPackKernelIcjEvPKhPKT_PT0_S4_PKm.uses_vcc, 1
	.set _Z13bitPackKernelIcjEvPKhPKT_PT0_S4_PKm.uses_flat_scratch, 0
	.set _Z13bitPackKernelIcjEvPKhPKT_PT0_S4_PKm.has_dyn_sized_stack, 0
	.set _Z13bitPackKernelIcjEvPKhPKT_PT0_S4_PKm.has_recursion, 0
	.set _Z13bitPackKernelIcjEvPKhPKT_PT0_S4_PKm.has_indirect_call, 0
	.section	.AMDGPU.csdata,"",@progbits
; Kernel info:
; codeLenInByte = 2696
; TotalNumSgprs: 33
; NumVgprs: 24
; ScratchSize: 0
; MemoryBound: 0
; FloatMode: 240
; IeeeMode: 1
; LDSByteSize: 256 bytes/workgroup (compile time only)
; SGPRBlocks: 4
; VGPRBlocks: 5
; NumSGPRsForWavesPerEU: 33
; NumVGPRsForWavesPerEU: 24
; Occupancy: 10
; WaveLimiterHint : 0
; COMPUTE_PGM_RSRC2:SCRATCH_EN: 0
; COMPUTE_PGM_RSRC2:USER_SGPR: 6
; COMPUTE_PGM_RSRC2:TRAP_HANDLER: 0
; COMPUTE_PGM_RSRC2:TGID_X_EN: 1
; COMPUTE_PGM_RSRC2:TGID_Y_EN: 0
; COMPUTE_PGM_RSRC2:TGID_Z_EN: 0
; COMPUTE_PGM_RSRC2:TIDIG_COMP_CNT: 0
	.section	.text._Z23bitPackConfigScanKernelIhhEvPT_S1_PKT0_PKm,"axG",@progbits,_Z23bitPackConfigScanKernelIhhEvPT_S1_PKT0_PKm,comdat
	.protected	_Z23bitPackConfigScanKernelIhhEvPT_S1_PKT0_PKm ; -- Begin function _Z23bitPackConfigScanKernelIhhEvPT_S1_PKT0_PKm
	.globl	_Z23bitPackConfigScanKernelIhhEvPT_S1_PKT0_PKm
	.p2align	8
	.type	_Z23bitPackConfigScanKernelIhhEvPT_S1_PKT0_PKm,@function
_Z23bitPackConfigScanKernelIhhEvPT_S1_PKT0_PKm: ; @_Z23bitPackConfigScanKernelIhhEvPT_S1_PKT0_PKm
; %bb.0:
	s_load_dwordx8 s[8:15], s[4:5], 0x0
	s_waitcnt lgkmcnt(0)
	s_load_dwordx2 s[0:1], s[14:15], 0x0
	s_mov_b32 s15, 0
	s_waitcnt lgkmcnt(0)
	s_lshr_b64 s[2:3], s[0:1], 8
	s_and_b32 s14, s0, 0xff
	s_cmp_lg_u64 s[14:15], 0
	s_cselect_b64 s[14:15], -1, 0
	s_cmp_lg_u64 s[14:15], 0
	s_addc_u32 s14, s2, 0
	s_cmp_ge_u32 s6, s14
	s_cbranch_scc1 .LBB3_82
; %bb.1:
	s_cmp_lt_i32 s6, s14
	s_cbranch_scc1 .LBB3_83
; %bb.2:
	s_cbranch_execz .LBB3_84
; %bb.3:
	s_mov_b32 s7, 0
	v_mov_b32_e32 v1, 0
	v_mov_b32_e32 v2, 0
.LBB3_4:
	s_movk_i32 s0, 0x7f
	ds_write_b8 v0, v1 offset:256
	ds_write_b8 v0, v2
	v_cmp_lt_u32_e32 vcc, s0, v0
	v_add_u32_e32 v1, 0xffffff80, v0
	s_waitcnt lgkmcnt(0)
	s_barrier
	s_and_saveexec_b64 s[0:1], vcc
	s_xor_b64 s[2:3], exec, s[0:1]
	s_cbranch_execz .LBB3_8
; %bb.5:
	v_cmp_gt_i32_e64 s[0:1], s7, v0
	s_and_saveexec_b64 s[4:5], s[0:1]
	s_cbranch_execz .LBB3_7
; %bb.6:
	ds_read_u8 v2, v1
	ds_read_u8 v3, v0
	s_waitcnt lgkmcnt(0)
	v_max_u16_e32 v2, v2, v3
	ds_write_b8 v1, v2
.LBB3_7:
	s_or_b64 exec, exec, s[4:5]
.LBB3_8:
	s_andn2_saveexec_b64 s[2:3], s[2:3]
	s_cbranch_execz .LBB3_12
; %bb.9:
	v_or_b32_e32 v2, 0x80, v0
	v_cmp_gt_i32_e64 s[0:1], s7, v2
	s_and_saveexec_b64 s[4:5], s[0:1]
	s_cbranch_execz .LBB3_11
; %bb.10:
	ds_read_u8 v2, v0 offset:256
	ds_read_u8 v3, v0 offset:384
	s_waitcnt lgkmcnt(0)
	v_min_u16_e32 v2, v2, v3
	ds_write_b8 v0, v2 offset:256
.LBB3_11:
	s_or_b64 exec, exec, s[4:5]
.LBB3_12:
	s_or_b64 exec, exec, s[2:3]
	s_waitcnt lgkmcnt(0)
	s_barrier
	s_and_saveexec_b64 s[0:1], vcc
	s_xor_b64 s[2:3], exec, s[0:1]
	s_cbranch_execz .LBB3_17
; %bb.13:
	s_movk_i32 s0, 0xc0
	v_cmp_gt_u32_e64 s[0:1], s0, v0
	s_and_saveexec_b64 s[4:5], s[0:1]
	s_cbranch_execz .LBB3_16
; %bb.14:
	v_subrev_u32_e32 v2, 64, v0
	v_cmp_gt_i32_e64 s[0:1], s7, v2
	s_and_b64 exec, exec, s[0:1]
	s_cbranch_execz .LBB3_16
; %bb.15:
	ds_read_u8 v3, v1
	ds_read_u8 v2, v2
	s_waitcnt lgkmcnt(0)
	v_max_u16_e32 v2, v3, v2
	ds_write_b8 v1, v2
.LBB3_16:
	s_or_b64 exec, exec, s[4:5]
.LBB3_17:
	s_andn2_saveexec_b64 s[2:3], s[2:3]
	s_cbranch_execz .LBB3_22
; %bb.18:
	v_cmp_gt_u32_e64 s[0:1], 64, v0
	s_and_saveexec_b64 s[4:5], s[0:1]
	s_cbranch_execz .LBB3_21
; %bb.19:
	v_or_b32_e32 v2, 64, v0
	v_cmp_gt_i32_e64 s[0:1], s7, v2
	s_and_b64 exec, exec, s[0:1]
	s_cbranch_execz .LBB3_21
; %bb.20:
	ds_read_u8 v2, v0 offset:256
	ds_read_u8 v3, v0 offset:320
	s_waitcnt lgkmcnt(0)
	v_min_u16_e32 v2, v2, v3
	ds_write_b8 v0, v2 offset:256
.LBB3_21:
	s_or_b64 exec, exec, s[4:5]
.LBB3_22:
	s_or_b64 exec, exec, s[2:3]
	s_waitcnt lgkmcnt(0)
	s_barrier
	s_and_saveexec_b64 s[0:1], vcc
	s_xor_b64 s[2:3], exec, s[0:1]
	s_cbranch_execz .LBB3_27
; %bb.23:
	s_movk_i32 s0, 0xa0
	v_cmp_gt_u32_e64 s[0:1], s0, v0
	s_and_saveexec_b64 s[4:5], s[0:1]
	s_cbranch_execz .LBB3_26
; %bb.24:
	v_add_u32_e32 v2, 0xffffffa0, v0
	v_cmp_gt_i32_e64 s[0:1], s7, v2
	s_and_b64 exec, exec, s[0:1]
	s_cbranch_execz .LBB3_26
; %bb.25:
	ds_read_u8 v3, v1
	ds_read_u8 v2, v2
	s_waitcnt lgkmcnt(0)
	v_max_u16_e32 v2, v3, v2
	ds_write_b8 v1, v2
.LBB3_26:
	s_or_b64 exec, exec, s[4:5]
.LBB3_27:
	s_andn2_saveexec_b64 s[2:3], s[2:3]
	s_cbranch_execz .LBB3_32
; %bb.28:
	v_cmp_gt_u32_e64 s[0:1], 32, v0
	s_and_saveexec_b64 s[4:5], s[0:1]
	s_cbranch_execz .LBB3_31
; %bb.29:
	v_or_b32_e32 v2, 32, v0
	v_cmp_gt_i32_e64 s[0:1], s7, v2
	s_and_b64 exec, exec, s[0:1]
	s_cbranch_execz .LBB3_31
; %bb.30:
	ds_read_u8 v2, v0 offset:256
	ds_read_u8 v3, v0 offset:288
	s_waitcnt lgkmcnt(0)
	v_min_u16_e32 v2, v2, v3
	ds_write_b8 v0, v2 offset:256
.LBB3_31:
	s_or_b64 exec, exec, s[4:5]
.LBB3_32:
	s_or_b64 exec, exec, s[2:3]
	s_waitcnt lgkmcnt(0)
	s_barrier
	s_and_saveexec_b64 s[0:1], vcc
	s_xor_b64 s[2:3], exec, s[0:1]
	s_cbranch_execz .LBB3_37
; %bb.33:
	s_movk_i32 s0, 0x90
	v_cmp_gt_u32_e64 s[0:1], s0, v0
	s_and_saveexec_b64 s[4:5], s[0:1]
	s_cbranch_execz .LBB3_36
; %bb.34:
	v_add_u32_e32 v2, 0xffffff90, v0
	v_cmp_gt_i32_e64 s[0:1], s7, v2
	s_and_b64 exec, exec, s[0:1]
	s_cbranch_execz .LBB3_36
; %bb.35:
	ds_read_u8 v3, v1
	ds_read_u8 v2, v2
	s_waitcnt lgkmcnt(0)
	v_max_u16_e32 v2, v3, v2
	ds_write_b8 v1, v2
.LBB3_36:
	s_or_b64 exec, exec, s[4:5]
.LBB3_37:
	;; [unrolled: 45-line block ×5, first 2 shown]
	s_andn2_saveexec_b64 s[2:3], s[2:3]
	s_cbranch_execz .LBB3_72
; %bb.68:
	v_cmp_gt_u32_e64 s[0:1], 2, v0
	s_and_saveexec_b64 s[4:5], s[0:1]
	s_cbranch_execz .LBB3_71
; %bb.69:
	v_or_b32_e32 v2, 2, v0
	v_cmp_gt_i32_e64 s[0:1], s7, v2
	s_and_b64 exec, exec, s[0:1]
	s_cbranch_execz .LBB3_71
; %bb.70:
	ds_read_u8 v2, v0 offset:256
	ds_read_u8 v3, v0 offset:258
	s_waitcnt lgkmcnt(0)
	v_min_u16_e32 v2, v2, v3
	ds_write_b8 v0, v2 offset:256
.LBB3_71:
	s_or_b64 exec, exec, s[4:5]
.LBB3_72:
	s_or_b64 exec, exec, s[2:3]
	s_cmp_gt_i32 s7, 1
	s_cselect_b64 s[0:1], -1, 0
	s_waitcnt lgkmcnt(0)
	s_barrier
	s_and_saveexec_b64 s[2:3], vcc
	s_xor_b64 s[2:3], exec, s[2:3]
	s_cbranch_execz .LBB3_76
; %bb.73:
	s_movk_i32 s4, 0x80
	v_cmp_eq_u32_e32 vcc, s4, v0
	s_and_b64 s[12:13], vcc, s[0:1]
	s_and_saveexec_b64 s[4:5], s[12:13]
	s_cbranch_execz .LBB3_75
; %bb.74:
	v_mov_b32_e32 v2, 0
	ds_read_u8 v3, v1
	ds_read_u8 v2, v2 offset:1
	s_waitcnt lgkmcnt(0)
	v_max_u16_e32 v2, v3, v2
	ds_write_b8 v1, v2
.LBB3_75:
	s_or_b64 exec, exec, s[4:5]
.LBB3_76:
	s_andn2_saveexec_b64 s[2:3], s[2:3]
	s_cbranch_execz .LBB3_80
; %bb.77:
	v_cmp_eq_u32_e32 vcc, 0, v0
	s_and_b64 s[4:5], vcc, s[0:1]
	s_and_saveexec_b64 s[0:1], s[4:5]
	s_cbranch_execz .LBB3_79
; %bb.78:
	v_mov_b32_e32 v1, 0
	ds_read_u8 v2, v0 offset:256
	ds_read_u8 v1, v1 offset:257
	s_waitcnt lgkmcnt(0)
	v_min_u16_e32 v1, v2, v1
	ds_write_b8 v0, v1 offset:256
.LBB3_79:
	s_or_b64 exec, exec, s[0:1]
.LBB3_80:
	s_or_b64 exec, exec, s[2:3]
	v_cmp_eq_u32_e32 vcc, 0, v0
	s_waitcnt lgkmcnt(0)
	s_barrier
	s_and_saveexec_b64 s[0:1], vcc
	s_cbranch_execz .LBB3_82
; %bb.81:
	v_mov_b32_e32 v0, 0
	ds_read_u8 v1, v0 offset:256
	ds_read_u8 v0, v0
	v_mov_b32_e32 v2, s6
	s_waitcnt lgkmcnt(1)
	global_store_byte v2, v1, s[8:9]
	s_waitcnt lgkmcnt(0)
	global_store_byte v2, v0, s[10:11]
.LBB3_82:
	s_endpgm
.LBB3_83:
.LBB3_84:
	s_load_dword s2, s[4:5], 0x20
	s_lshl_b32 s1, s6, 8
	v_mov_b32_e32 v1, 0
	v_add_u32_e32 v3, s1, v0
	s_sub_i32 s3, s0, s1
	s_waitcnt lgkmcnt(0)
	s_lshl_b32 s4, s2, 8
	s_mov_b32 s5, 0
	v_mov_b32_e32 v2, 0
	s_mov_b32 s7, 0
	s_branch .LBB3_86
.LBB3_85:                               ;   in Loop: Header=BB3_86 Depth=1
	s_or_b64 exec, exec, s[0:1]
	s_add_i32 s5, s5, s2
	s_max_i32 s7, s7, s15
	s_add_i32 s0, s6, s5
	s_sub_i32 s3, s3, s4
	s_cmp_ge_i32 s0, s14
	v_add_u32_e32 v3, s4, v3
	s_cbranch_scc1 .LBB3_4
.LBB3_86:                               ; =>This Inner Loop Header: Depth=1
	s_min_i32 s15, s3, 0x100
	v_cmp_gt_u32_e32 vcc, s15, v0
	s_and_saveexec_b64 s[0:1], vcc
	s_cbranch_execz .LBB3_85
; %bb.87:                               ;   in Loop: Header=BB3_86 Depth=1
	global_load_ubyte v4, v3, s[12:13]
	s_cmp_eq_u32 s5, 0
	s_cselect_b64 vcc, -1, 0
	s_waitcnt vmcnt(0)
	v_min_u16_sdwa v1, v4, v1 dst_sel:DWORD dst_unused:UNUSED_PAD src0_sel:DWORD src1_sel:BYTE_0
	v_max_u16_sdwa v2, v4, v2 dst_sel:DWORD dst_unused:UNUSED_PAD src0_sel:DWORD src1_sel:BYTE_0
	v_cndmask_b32_e32 v2, v2, v4, vcc
	v_cndmask_b32_e32 v1, v1, v4, vcc
	s_branch .LBB3_85
	.section	.rodata,"a",@progbits
	.p2align	6, 0x0
	.amdhsa_kernel _Z23bitPackConfigScanKernelIhhEvPT_S1_PKT0_PKm
		.amdhsa_group_segment_fixed_size 512
		.amdhsa_private_segment_fixed_size 0
		.amdhsa_kernarg_size 288
		.amdhsa_user_sgpr_count 6
		.amdhsa_user_sgpr_private_segment_buffer 1
		.amdhsa_user_sgpr_dispatch_ptr 0
		.amdhsa_user_sgpr_queue_ptr 0
		.amdhsa_user_sgpr_kernarg_segment_ptr 1
		.amdhsa_user_sgpr_dispatch_id 0
		.amdhsa_user_sgpr_flat_scratch_init 0
		.amdhsa_user_sgpr_private_segment_size 0
		.amdhsa_uses_dynamic_stack 0
		.amdhsa_system_sgpr_private_segment_wavefront_offset 0
		.amdhsa_system_sgpr_workgroup_id_x 1
		.amdhsa_system_sgpr_workgroup_id_y 0
		.amdhsa_system_sgpr_workgroup_id_z 0
		.amdhsa_system_sgpr_workgroup_info 0
		.amdhsa_system_vgpr_workitem_id 0
		.amdhsa_next_free_vgpr 5
		.amdhsa_next_free_sgpr 16
		.amdhsa_reserve_vcc 1
		.amdhsa_reserve_flat_scratch 0
		.amdhsa_float_round_mode_32 0
		.amdhsa_float_round_mode_16_64 0
		.amdhsa_float_denorm_mode_32 3
		.amdhsa_float_denorm_mode_16_64 3
		.amdhsa_dx10_clamp 1
		.amdhsa_ieee_mode 1
		.amdhsa_fp16_overflow 0
		.amdhsa_exception_fp_ieee_invalid_op 0
		.amdhsa_exception_fp_denorm_src 0
		.amdhsa_exception_fp_ieee_div_zero 0
		.amdhsa_exception_fp_ieee_overflow 0
		.amdhsa_exception_fp_ieee_underflow 0
		.amdhsa_exception_fp_ieee_inexact 0
		.amdhsa_exception_int_div_zero 0
	.end_amdhsa_kernel
	.section	.text._Z23bitPackConfigScanKernelIhhEvPT_S1_PKT0_PKm,"axG",@progbits,_Z23bitPackConfigScanKernelIhhEvPT_S1_PKT0_PKm,comdat
.Lfunc_end3:
	.size	_Z23bitPackConfigScanKernelIhhEvPT_S1_PKT0_PKm, .Lfunc_end3-_Z23bitPackConfigScanKernelIhhEvPT_S1_PKT0_PKm
                                        ; -- End function
	.set _Z23bitPackConfigScanKernelIhhEvPT_S1_PKT0_PKm.num_vgpr, 5
	.set _Z23bitPackConfigScanKernelIhhEvPT_S1_PKT0_PKm.num_agpr, 0
	.set _Z23bitPackConfigScanKernelIhhEvPT_S1_PKT0_PKm.numbered_sgpr, 16
	.set _Z23bitPackConfigScanKernelIhhEvPT_S1_PKT0_PKm.num_named_barrier, 0
	.set _Z23bitPackConfigScanKernelIhhEvPT_S1_PKT0_PKm.private_seg_size, 0
	.set _Z23bitPackConfigScanKernelIhhEvPT_S1_PKT0_PKm.uses_vcc, 1
	.set _Z23bitPackConfigScanKernelIhhEvPT_S1_PKT0_PKm.uses_flat_scratch, 0
	.set _Z23bitPackConfigScanKernelIhhEvPT_S1_PKT0_PKm.has_dyn_sized_stack, 0
	.set _Z23bitPackConfigScanKernelIhhEvPT_S1_PKT0_PKm.has_recursion, 0
	.set _Z23bitPackConfigScanKernelIhhEvPT_S1_PKT0_PKm.has_indirect_call, 0
	.section	.AMDGPU.csdata,"",@progbits
; Kernel info:
; codeLenInByte = 1740
; TotalNumSgprs: 20
; NumVgprs: 5
; ScratchSize: 0
; MemoryBound: 0
; FloatMode: 240
; IeeeMode: 1
; LDSByteSize: 512 bytes/workgroup (compile time only)
; SGPRBlocks: 2
; VGPRBlocks: 1
; NumSGPRsForWavesPerEU: 20
; NumVGPRsForWavesPerEU: 5
; Occupancy: 10
; WaveLimiterHint : 0
; COMPUTE_PGM_RSRC2:SCRATCH_EN: 0
; COMPUTE_PGM_RSRC2:USER_SGPR: 6
; COMPUTE_PGM_RSRC2:TRAP_HANDLER: 0
; COMPUTE_PGM_RSRC2:TGID_X_EN: 1
; COMPUTE_PGM_RSRC2:TGID_Y_EN: 0
; COMPUTE_PGM_RSRC2:TGID_Z_EN: 0
; COMPUTE_PGM_RSRC2:TIDIG_COMP_CNT: 0
	.section	.text._Z27bitPackConfigFinalizeKernelIhhEvPKT_S2_PhPT0_PKm,"axG",@progbits,_Z27bitPackConfigFinalizeKernelIhhEvPKT_S2_PhPT0_PKm,comdat
	.protected	_Z27bitPackConfigFinalizeKernelIhhEvPKT_S2_PhPT0_PKm ; -- Begin function _Z27bitPackConfigFinalizeKernelIhhEvPKT_S2_PhPT0_PKm
	.globl	_Z27bitPackConfigFinalizeKernelIhhEvPKT_S2_PhPT0_PKm
	.p2align	8
	.type	_Z27bitPackConfigFinalizeKernelIhhEvPKT_S2_PhPT0_PKm,@function
_Z27bitPackConfigFinalizeKernelIhhEvPKT_S2_PhPT0_PKm: ; @_Z27bitPackConfigFinalizeKernelIhhEvPKT_S2_PhPT0_PKm
; %bb.0:
	s_load_dwordx2 s[0:1], s[4:5], 0x20
	s_mov_b32 s3, 0
	s_load_dwordx8 s[8:15], s[4:5], 0x0
	s_waitcnt lgkmcnt(0)
	s_load_dwordx2 s[0:1], s[0:1], 0x0
	s_waitcnt lgkmcnt(0)
	s_lshr_b64 s[4:5], s[0:1], 8
	s_and_b32 s2, s0, 0xff
	s_cmp_lg_u64 s[2:3], 0
	s_cselect_b64 s[0:1], -1, 0
	v_cndmask_b32_e64 v2, 0, 1, s[0:1]
	v_mov_b32_e32 v1, s5
	v_add_co_u32_e32 v2, vcc, s4, v2
	v_addc_co_u32_e32 v3, vcc, 0, v1, vcc
	s_mov_b64 s[0:1], 0x1000
	v_cmp_gt_u64_e32 vcc, s[0:1], v[2:3]
	v_mov_b32_e32 v1, 0x1000
	v_cndmask_b32_e32 v6, v1, v2, vcc
	v_cmp_lt_u32_e32 vcc, v0, v6
	s_and_saveexec_b64 s[2:3], vcc
	s_cbranch_execz .LBB4_6
; %bb.1:
	global_load_ubyte v7, v0, s[8:9]
	global_load_ubyte v8, v0, s[10:11]
	v_add_u32_e32 v1, 0x100, v0
	v_cmp_lt_u32_e32 vcc, v1, v6
	s_and_saveexec_b64 s[4:5], vcc
	s_cbranch_execz .LBB4_5
; %bb.2:
	s_add_u32 s8, s8, 0x100
	s_addc_u32 s0, s9, 0
	v_mov_b32_e32 v1, 0
	s_add_u32 s9, s10, 0x100
	s_addc_u32 s1, s11, 0
	v_mov_b32_e32 v5, v1
	s_mov_b64 s[6:7], 0
	v_mov_b32_e32 v9, s0
	v_mov_b32_e32 v10, s1
	s_movk_i32 s10, 0xeff
	v_mov_b32_e32 v4, v0
.LBB4_3:                                ; =>This Inner Loop Header: Depth=1
	v_add_co_u32_e32 v11, vcc, s8, v4
	v_addc_co_u32_e32 v12, vcc, v9, v5, vcc
	v_add_co_u32_e32 v13, vcc, s9, v4
	v_addc_co_u32_e32 v14, vcc, v10, v5, vcc
	global_load_ubyte v1, v[11:12], off
	global_load_ubyte v15, v[13:14], off
	v_add_co_u32_e32 v11, vcc, 0x100, v4
	v_add_u32_e32 v4, 0x200, v4
	v_addc_co_u32_e32 v12, vcc, 0, v5, vcc
	v_cmp_lt_u32_e32 vcc, s10, v11
	v_cmp_ge_u32_e64 s[0:1], v4, v6
	s_or_b64 s[0:1], vcc, s[0:1]
	v_mov_b32_e32 v4, v11
	s_and_b64 s[0:1], exec, s[0:1]
	v_mov_b32_e32 v5, v12
	s_or_b64 s[6:7], s[0:1], s[6:7]
	s_waitcnt vmcnt(1)
	v_min_u16_sdwa v7, v1, v7 dst_sel:DWORD dst_unused:UNUSED_PAD src0_sel:DWORD src1_sel:BYTE_0
	s_waitcnt vmcnt(0)
	v_max_u16_sdwa v8, v15, v8 dst_sel:DWORD dst_unused:UNUSED_PAD src0_sel:DWORD src1_sel:BYTE_0
	s_andn2_b64 exec, exec, s[6:7]
	s_cbranch_execnz .LBB4_3
; %bb.4:
	s_or_b64 exec, exec, s[6:7]
.LBB4_5:
	s_or_b64 exec, exec, s[4:5]
	s_waitcnt vmcnt(1)
	ds_write_b8 v0, v7 offset:256
	s_waitcnt vmcnt(0)
	ds_write_b8 v0, v8
.LBB4_6:
	s_or_b64 exec, exec, s[2:3]
	s_movk_i32 s0, 0x7f
	v_min_u32_e32 v4, 0x100, v6
	v_cmp_lt_u32_e32 vcc, s0, v0
	v_add_u32_e32 v1, 0xffffff80, v0
	s_waitcnt lgkmcnt(0)
	s_barrier
	s_and_saveexec_b64 s[0:1], vcc
	s_xor_b64 s[2:3], exec, s[0:1]
	s_cbranch_execz .LBB4_10
; %bb.7:
	v_cmp_lt_u32_e64 s[0:1], v0, v4
	s_and_saveexec_b64 s[4:5], s[0:1]
	s_cbranch_execz .LBB4_9
; %bb.8:
	ds_read_u8 v5, v1
	ds_read_u8 v6, v0
	s_waitcnt lgkmcnt(0)
	v_max_u16_e32 v5, v5, v6
	ds_write_b8 v1, v5
.LBB4_9:
	s_or_b64 exec, exec, s[4:5]
.LBB4_10:
	s_andn2_saveexec_b64 s[2:3], s[2:3]
	s_cbranch_execz .LBB4_14
; %bb.11:
	v_or_b32_e32 v5, 0x80, v0
	v_cmp_lt_u32_e64 s[0:1], v5, v4
	s_and_saveexec_b64 s[4:5], s[0:1]
	s_cbranch_execz .LBB4_13
; %bb.12:
	ds_read_u8 v5, v0 offset:256
	ds_read_u8 v6, v0 offset:384
	s_waitcnt lgkmcnt(0)
	v_min_u16_e32 v5, v5, v6
	ds_write_b8 v0, v5 offset:256
.LBB4_13:
	s_or_b64 exec, exec, s[4:5]
.LBB4_14:
	s_or_b64 exec, exec, s[2:3]
	s_waitcnt lgkmcnt(0)
	s_barrier
	s_and_saveexec_b64 s[0:1], vcc
	s_xor_b64 s[2:3], exec, s[0:1]
	s_cbranch_execz .LBB4_19
; %bb.15:
	s_movk_i32 s0, 0xc0
	v_cmp_gt_u32_e64 s[0:1], s0, v0
	s_and_saveexec_b64 s[4:5], s[0:1]
	s_cbranch_execz .LBB4_18
; %bb.16:
	v_subrev_u32_e32 v5, 64, v0
	v_cmp_lt_u32_e64 s[0:1], v5, v4
	s_and_b64 exec, exec, s[0:1]
	s_cbranch_execz .LBB4_18
; %bb.17:
	ds_read_u8 v6, v1
	ds_read_u8 v5, v5
	s_waitcnt lgkmcnt(0)
	v_max_u16_e32 v5, v6, v5
	ds_write_b8 v1, v5
.LBB4_18:
	s_or_b64 exec, exec, s[4:5]
.LBB4_19:
	s_andn2_saveexec_b64 s[2:3], s[2:3]
	s_cbranch_execz .LBB4_24
; %bb.20:
	v_cmp_gt_u32_e64 s[0:1], 64, v0
	s_and_saveexec_b64 s[4:5], s[0:1]
	s_cbranch_execz .LBB4_23
; %bb.21:
	v_or_b32_e32 v5, 64, v0
	v_cmp_lt_u32_e64 s[0:1], v5, v4
	s_and_b64 exec, exec, s[0:1]
	s_cbranch_execz .LBB4_23
; %bb.22:
	ds_read_u8 v5, v0 offset:256
	ds_read_u8 v6, v0 offset:320
	s_waitcnt lgkmcnt(0)
	v_min_u16_e32 v5, v5, v6
	ds_write_b8 v0, v5 offset:256
.LBB4_23:
	s_or_b64 exec, exec, s[4:5]
.LBB4_24:
	s_or_b64 exec, exec, s[2:3]
	s_waitcnt lgkmcnt(0)
	s_barrier
	s_and_saveexec_b64 s[0:1], vcc
	s_xor_b64 s[2:3], exec, s[0:1]
	s_cbranch_execz .LBB4_29
; %bb.25:
	s_movk_i32 s0, 0xa0
	v_cmp_gt_u32_e64 s[0:1], s0, v0
	s_and_saveexec_b64 s[4:5], s[0:1]
	s_cbranch_execz .LBB4_28
; %bb.26:
	v_add_u32_e32 v5, 0xffffffa0, v0
	v_cmp_lt_u32_e64 s[0:1], v5, v4
	s_and_b64 exec, exec, s[0:1]
	s_cbranch_execz .LBB4_28
; %bb.27:
	ds_read_u8 v6, v1
	ds_read_u8 v5, v5
	s_waitcnt lgkmcnt(0)
	v_max_u16_e32 v5, v6, v5
	ds_write_b8 v1, v5
.LBB4_28:
	s_or_b64 exec, exec, s[4:5]
.LBB4_29:
	s_andn2_saveexec_b64 s[2:3], s[2:3]
	s_cbranch_execz .LBB4_34
; %bb.30:
	v_cmp_gt_u32_e64 s[0:1], 32, v0
	s_and_saveexec_b64 s[4:5], s[0:1]
	s_cbranch_execz .LBB4_33
; %bb.31:
	v_or_b32_e32 v5, 32, v0
	v_cmp_lt_u32_e64 s[0:1], v5, v4
	s_and_b64 exec, exec, s[0:1]
	s_cbranch_execz .LBB4_33
; %bb.32:
	ds_read_u8 v5, v0 offset:256
	ds_read_u8 v6, v0 offset:288
	s_waitcnt lgkmcnt(0)
	v_min_u16_e32 v5, v5, v6
	ds_write_b8 v0, v5 offset:256
.LBB4_33:
	s_or_b64 exec, exec, s[4:5]
.LBB4_34:
	s_or_b64 exec, exec, s[2:3]
	s_waitcnt lgkmcnt(0)
	s_barrier
	s_and_saveexec_b64 s[0:1], vcc
	s_xor_b64 s[2:3], exec, s[0:1]
	s_cbranch_execz .LBB4_39
; %bb.35:
	s_movk_i32 s0, 0x90
	v_cmp_gt_u32_e64 s[0:1], s0, v0
	s_and_saveexec_b64 s[4:5], s[0:1]
	s_cbranch_execz .LBB4_38
; %bb.36:
	v_add_u32_e32 v5, 0xffffff90, v0
	v_cmp_lt_u32_e64 s[0:1], v5, v4
	s_and_b64 exec, exec, s[0:1]
	s_cbranch_execz .LBB4_38
; %bb.37:
	ds_read_u8 v6, v1
	ds_read_u8 v5, v5
	s_waitcnt lgkmcnt(0)
	v_max_u16_e32 v5, v6, v5
	ds_write_b8 v1, v5
.LBB4_38:
	s_or_b64 exec, exec, s[4:5]
.LBB4_39:
	;; [unrolled: 45-line block ×4, first 2 shown]
	s_andn2_saveexec_b64 s[2:3], s[2:3]
	s_cbranch_execz .LBB4_64
; %bb.60:
	v_cmp_gt_u32_e64 s[0:1], 4, v0
	s_and_saveexec_b64 s[4:5], s[0:1]
	s_cbranch_execz .LBB4_63
; %bb.61:
	v_or_b32_e32 v5, 4, v0
	v_cmp_lt_u32_e64 s[0:1], v5, v4
	s_and_b64 exec, exec, s[0:1]
	s_cbranch_execz .LBB4_63
; %bb.62:
	ds_read_u8 v5, v0 offset:256
	ds_read_u8 v6, v0 offset:260
	s_waitcnt lgkmcnt(0)
	v_min_u16_e32 v5, v5, v6
	ds_write_b8 v0, v5 offset:256
.LBB4_63:
	s_or_b64 exec, exec, s[4:5]
.LBB4_64:
	s_or_b64 exec, exec, s[2:3]
	s_waitcnt lgkmcnt(0)
	s_barrier
	s_and_saveexec_b64 s[0:1], vcc
	s_xor_b64 s[2:3], exec, s[0:1]
	s_cbranch_execz .LBB4_69
; %bb.65:
	s_movk_i32 s0, 0x82
	v_cmp_gt_u32_e64 s[0:1], s0, v0
	s_and_saveexec_b64 s[4:5], s[0:1]
	s_cbranch_execz .LBB4_68
; %bb.66:
	v_add_u32_e32 v5, 0xffffff82, v0
	v_cmp_lt_u32_e64 s[0:1], v5, v4
	s_and_b64 exec, exec, s[0:1]
	s_cbranch_execz .LBB4_68
; %bb.67:
	ds_read_u8 v4, v1
	ds_read_u8 v5, v5
	s_waitcnt lgkmcnt(0)
	v_max_u16_e32 v4, v4, v5
	ds_write_b8 v1, v4
.LBB4_68:
	s_or_b64 exec, exec, s[4:5]
                                        ; implicit-def: $vgpr4
.LBB4_69:
	s_andn2_saveexec_b64 s[2:3], s[2:3]
	s_cbranch_execz .LBB4_74
; %bb.70:
	v_cmp_gt_u32_e64 s[0:1], 2, v0
	s_and_saveexec_b64 s[4:5], s[0:1]
	s_cbranch_execz .LBB4_73
; %bb.71:
	v_or_b32_e32 v5, 2, v0
	v_cmp_lt_u32_e64 s[0:1], v5, v4
	s_and_b64 exec, exec, s[0:1]
	s_cbranch_execz .LBB4_73
; %bb.72:
	ds_read_u8 v4, v0 offset:256
	ds_read_u8 v5, v0 offset:258
	s_waitcnt lgkmcnt(0)
	v_min_u16_e32 v4, v4, v5
	ds_write_b8 v0, v4 offset:256
.LBB4_73:
	s_or_b64 exec, exec, s[4:5]
.LBB4_74:
	s_or_b64 exec, exec, s[2:3]
	v_cmp_lt_u64_e64 s[0:1], 1, v[2:3]
	s_waitcnt lgkmcnt(0)
	s_barrier
	s_and_saveexec_b64 s[2:3], vcc
	s_xor_b64 s[2:3], exec, s[2:3]
	s_cbranch_execz .LBB4_78
; %bb.75:
	s_movk_i32 s4, 0x80
	v_cmp_eq_u32_e32 vcc, s4, v0
	s_and_b64 s[6:7], vcc, s[0:1]
	s_and_saveexec_b64 s[4:5], s[6:7]
	s_cbranch_execz .LBB4_77
; %bb.76:
	v_mov_b32_e32 v2, 0
	ds_read_u8 v3, v1
	ds_read_u8 v2, v2 offset:1
	s_waitcnt lgkmcnt(0)
	v_max_u16_e32 v2, v3, v2
	ds_write_b8 v1, v2
.LBB4_77:
	s_or_b64 exec, exec, s[4:5]
.LBB4_78:
	s_andn2_saveexec_b64 s[2:3], s[2:3]
	s_cbranch_execz .LBB4_82
; %bb.79:
	v_cmp_eq_u32_e32 vcc, 0, v0
	s_and_b64 s[4:5], vcc, s[0:1]
	s_and_saveexec_b64 s[0:1], s[4:5]
	s_cbranch_execz .LBB4_81
; %bb.80:
	v_mov_b32_e32 v1, 0
	ds_read_u8 v2, v0 offset:256
	ds_read_u8 v1, v1 offset:257
	s_waitcnt lgkmcnt(0)
	v_min_u16_e32 v1, v2, v1
	ds_write_b8 v0, v1 offset:256
.LBB4_81:
	s_or_b64 exec, exec, s[0:1]
.LBB4_82:
	s_or_b64 exec, exec, s[2:3]
	v_cmp_eq_u32_e32 vcc, 0, v0
	s_waitcnt lgkmcnt(0)
	s_barrier
	s_and_saveexec_b64 s[0:1], vcc
	s_cbranch_execz .LBB4_84
; %bb.83:
	v_mov_b32_e32 v0, 0
	ds_read_u8 v1, v0 offset:256
	ds_read_u8 v2, v0
	s_waitcnt lgkmcnt(1)
	global_store_byte v0, v1, s[14:15]
	s_waitcnt lgkmcnt(0)
	v_sub_u32_sdwa v1, v2, v1 dst_sel:DWORD dst_unused:UNUSED_PAD src0_sel:DWORD src1_sel:BYTE_0
	v_ffbh_u32_e32 v1, v1
	v_min_u32_e32 v1, 0xffff, v1
	v_sub_u16_e64 v1, 32, v1 clamp
	global_store_byte v0, v1, s[12:13]
.LBB4_84:
	s_endpgm
	.section	.rodata,"a",@progbits
	.p2align	6, 0x0
	.amdhsa_kernel _Z27bitPackConfigFinalizeKernelIhhEvPKT_S2_PhPT0_PKm
		.amdhsa_group_segment_fixed_size 512
		.amdhsa_private_segment_fixed_size 0
		.amdhsa_kernarg_size 40
		.amdhsa_user_sgpr_count 6
		.amdhsa_user_sgpr_private_segment_buffer 1
		.amdhsa_user_sgpr_dispatch_ptr 0
		.amdhsa_user_sgpr_queue_ptr 0
		.amdhsa_user_sgpr_kernarg_segment_ptr 1
		.amdhsa_user_sgpr_dispatch_id 0
		.amdhsa_user_sgpr_flat_scratch_init 0
		.amdhsa_user_sgpr_private_segment_size 0
		.amdhsa_uses_dynamic_stack 0
		.amdhsa_system_sgpr_private_segment_wavefront_offset 0
		.amdhsa_system_sgpr_workgroup_id_x 1
		.amdhsa_system_sgpr_workgroup_id_y 0
		.amdhsa_system_sgpr_workgroup_id_z 0
		.amdhsa_system_sgpr_workgroup_info 0
		.amdhsa_system_vgpr_workitem_id 0
		.amdhsa_next_free_vgpr 16
		.amdhsa_next_free_sgpr 16
		.amdhsa_reserve_vcc 1
		.amdhsa_reserve_flat_scratch 0
		.amdhsa_float_round_mode_32 0
		.amdhsa_float_round_mode_16_64 0
		.amdhsa_float_denorm_mode_32 3
		.amdhsa_float_denorm_mode_16_64 3
		.amdhsa_dx10_clamp 1
		.amdhsa_ieee_mode 1
		.amdhsa_fp16_overflow 0
		.amdhsa_exception_fp_ieee_invalid_op 0
		.amdhsa_exception_fp_denorm_src 0
		.amdhsa_exception_fp_ieee_div_zero 0
		.amdhsa_exception_fp_ieee_overflow 0
		.amdhsa_exception_fp_ieee_underflow 0
		.amdhsa_exception_fp_ieee_inexact 0
		.amdhsa_exception_int_div_zero 0
	.end_amdhsa_kernel
	.section	.text._Z27bitPackConfigFinalizeKernelIhhEvPKT_S2_PhPT0_PKm,"axG",@progbits,_Z27bitPackConfigFinalizeKernelIhhEvPKT_S2_PhPT0_PKm,comdat
.Lfunc_end4:
	.size	_Z27bitPackConfigFinalizeKernelIhhEvPKT_S2_PhPT0_PKm, .Lfunc_end4-_Z27bitPackConfigFinalizeKernelIhhEvPKT_S2_PhPT0_PKm
                                        ; -- End function
	.set _Z27bitPackConfigFinalizeKernelIhhEvPKT_S2_PhPT0_PKm.num_vgpr, 16
	.set _Z27bitPackConfigFinalizeKernelIhhEvPKT_S2_PhPT0_PKm.num_agpr, 0
	.set _Z27bitPackConfigFinalizeKernelIhhEvPKT_S2_PhPT0_PKm.numbered_sgpr, 16
	.set _Z27bitPackConfigFinalizeKernelIhhEvPKT_S2_PhPT0_PKm.num_named_barrier, 0
	.set _Z27bitPackConfigFinalizeKernelIhhEvPKT_S2_PhPT0_PKm.private_seg_size, 0
	.set _Z27bitPackConfigFinalizeKernelIhhEvPKT_S2_PhPT0_PKm.uses_vcc, 1
	.set _Z27bitPackConfigFinalizeKernelIhhEvPKT_S2_PhPT0_PKm.uses_flat_scratch, 0
	.set _Z27bitPackConfigFinalizeKernelIhhEvPKT_S2_PhPT0_PKm.has_dyn_sized_stack, 0
	.set _Z27bitPackConfigFinalizeKernelIhhEvPKT_S2_PhPT0_PKm.has_recursion, 0
	.set _Z27bitPackConfigFinalizeKernelIhhEvPKT_S2_PhPT0_PKm.has_indirect_call, 0
	.section	.AMDGPU.csdata,"",@progbits
; Kernel info:
; codeLenInByte = 1872
; TotalNumSgprs: 20
; NumVgprs: 16
; ScratchSize: 0
; MemoryBound: 0
; FloatMode: 240
; IeeeMode: 1
; LDSByteSize: 512 bytes/workgroup (compile time only)
; SGPRBlocks: 2
; VGPRBlocks: 3
; NumSGPRsForWavesPerEU: 20
; NumVGPRsForWavesPerEU: 16
; Occupancy: 10
; WaveLimiterHint : 0
; COMPUTE_PGM_RSRC2:SCRATCH_EN: 0
; COMPUTE_PGM_RSRC2:USER_SGPR: 6
; COMPUTE_PGM_RSRC2:TRAP_HANDLER: 0
; COMPUTE_PGM_RSRC2:TGID_X_EN: 1
; COMPUTE_PGM_RSRC2:TGID_Y_EN: 0
; COMPUTE_PGM_RSRC2:TGID_Z_EN: 0
; COMPUTE_PGM_RSRC2:TIDIG_COMP_CNT: 0
	.section	.text._Z13bitPackKernelIhjEvPKhPKT_PT0_S4_PKm,"axG",@progbits,_Z13bitPackKernelIhjEvPKhPKT_PT0_S4_PKm,comdat
	.protected	_Z13bitPackKernelIhjEvPKhPKT_PT0_S4_PKm ; -- Begin function _Z13bitPackKernelIhjEvPKhPKT_PT0_S4_PKm
	.globl	_Z13bitPackKernelIhjEvPKhPKT_PT0_S4_PKm
	.p2align	8
	.type	_Z13bitPackKernelIhjEvPKhPKT_PT0_S4_PKm,@function
_Z13bitPackKernelIhjEvPKhPKT_PT0_S4_PKm: ; @_Z13bitPackKernelIhjEvPKhPKT_PT0_S4_PKm
; %bb.0:
	s_load_dwordx2 s[0:1], s[4:5], 0x20
	s_mov_b32 s16, 0
	s_mov_b32 s9, s16
	s_waitcnt lgkmcnt(0)
	s_load_dwordx2 s[2:3], s[0:1], 0x0
	s_waitcnt lgkmcnt(0)
	s_lshr_b64 s[0:1], s[2:3], 8
	s_and_b32 s8, s2, 0xff
	s_cmp_lg_u64 s[8:9], 0
	s_cselect_b64 s[8:9], -1, 0
	s_cmp_lg_u64 s[8:9], 0
	s_addc_u32 s7, s0, 0
	s_cmp_ge_i32 s6, s7
	s_cbranch_scc1 .LBB5_32
; %bb.1:
	s_load_dwordx8 s[8:15], s[4:5], 0x0
	v_mov_b32_e32 v1, 0
	v_mov_b32_e32 v4, 0x4f800000
	;; [unrolled: 1-line block ×3, first 2 shown]
	s_waitcnt lgkmcnt(0)
	global_load_ubyte v2, v1, s[8:9]
	global_load_ubyte v11, v1, s[10:11]
	s_load_dword s21, s[4:5], 0x28
	s_bfe_i64 s[4:5], s[2:3], 0x200000
	s_waitcnt vmcnt(1)
	v_readfirstlane_b32 s20, v2
	v_cvt_f32_u32_e32 v2, s20
	v_cvt_f32_u32_e32 v3, s20
	s_sub_i32 s22, 0, s20
	v_rcp_iflag_f32_e32 v2, v2
	v_mac_f32_e32 v3, 0, v4
	v_rcp_f32_e32 v3, v3
	v_mul_f32_e32 v2, 0x4f7ffffe, v2
	v_cvt_u32_f32_e32 v12, v2
	v_mul_f32_e32 v2, 0x5f7ffffc, v3
	v_mul_f32_e32 v4, 0x2f800000, v2
	v_trunc_f32_e32 v4, v4
	v_mul_lo_u32 v3, s22, v12
	v_mac_f32_e32 v2, 0xcf800000, v4
	v_cvt_u32_f32_e32 v13, v4
	v_cvt_u32_f32_e32 v14, v2
	v_mul_hi_u32 v3, v12, v3
	v_add_u32_e32 v15, v12, v3
	s_branch .LBB5_3
.LBB5_2:                                ;   in Loop: Header=BB5_3 Depth=1
	s_or_b64 exec, exec, s[0:1]
	s_waitcnt lgkmcnt(0)
	s_add_i32 s6, s21, s6
	s_cmp_ge_i32 s6, s7
	s_cbranch_scc1 .LBB5_32
.LBB5_3:                                ; =>This Loop Header: Depth=1
                                        ;     Child Loop BB5_19 Depth 2
                                        ;       Child Loop BB5_23 Depth 3
	s_lshl_b32 s8, s6, 8
	v_add_u32_e32 v3, s8, v0
	v_ashrrev_i32_e32 v4, 31, v3
	v_lshlrev_b64 v[5:6], 5, v[3:4]
                                        ; implicit-def: $vgpr7_vgpr8
	v_mov_b32_e32 v2, v6
	v_cmp_ne_u64_e32 vcc, 0, v[1:2]
	s_and_saveexec_b64 s[0:1], vcc
	s_xor_b64 s[10:11], exec, s[0:1]
	s_cbranch_execz .LBB5_5
; %bb.4:                                ;   in Loop: Header=BB5_3 Depth=1
	s_sub_u32 s9, 0, s20
	v_readfirstlane_b32 s0, v14
	v_readfirstlane_b32 s19, v13
	s_subb_u32 s17, 0, 0
	s_mul_hi_u32 s18, s9, s0
	s_mul_i32 s23, s9, s19
	s_mul_i32 s1, s17, s0
	s_add_i32 s18, s18, s23
	s_add_i32 s18, s18, s1
	s_mul_i32 s24, s9, s0
	s_mul_i32 s23, s0, s18
	s_mul_hi_u32 s25, s0, s24
	s_mul_hi_u32 s1, s0, s18
	s_add_u32 s23, s25, s23
	s_addc_u32 s1, 0, s1
	s_mul_hi_u32 s26, s19, s24
	s_mul_i32 s24, s19, s24
	s_add_u32 s23, s23, s24
	s_mul_hi_u32 s25, s19, s18
	s_addc_u32 s1, s1, s26
	s_addc_u32 s23, s25, 0
	s_mul_i32 s18, s19, s18
	s_add_u32 s1, s1, s18
	s_addc_u32 s18, 0, s23
	s_add_u32 s23, s0, s1
	s_cselect_b64 s[0:1], -1, 0
	s_cmp_lg_u64 s[0:1], 0
	s_addc_u32 s18, s19, s18
	s_mul_i32 s0, s9, s18
	s_mul_hi_u32 s1, s9, s23
	s_add_i32 s0, s1, s0
	s_mul_i32 s17, s17, s23
	s_add_i32 s0, s0, s17
	s_mul_i32 s9, s9, s23
	s_mul_hi_u32 s17, s18, s9
	s_mul_i32 s19, s18, s9
	s_mul_i32 s25, s23, s0
	s_mul_hi_u32 s9, s23, s9
	s_mul_hi_u32 s24, s23, s0
	s_add_u32 s9, s9, s25
	s_addc_u32 s24, 0, s24
	s_add_u32 s9, s9, s19
	s_mul_hi_u32 s1, s18, s0
	s_addc_u32 s9, s24, s17
	s_addc_u32 s1, s1, 0
	s_mul_i32 s0, s18, s0
	s_add_u32 s0, s9, s0
	s_addc_u32 s9, 0, s1
	s_add_u32 s17, s23, s0
	s_cselect_b64 s[0:1], -1, 0
	s_cmp_lg_u64 s[0:1], 0
	s_addc_u32 s9, s18, s9
	v_mad_u64_u32 v[7:8], s[0:1], v5, s9, 0
	v_mul_hi_u32 v2, v5, s17
	v_mad_u64_u32 v[9:10], s[0:1], v6, s9, 0
	v_add_co_u32_e32 v2, vcc, v2, v7
	v_addc_co_u32_e32 v17, vcc, 0, v8, vcc
	v_mad_u64_u32 v[7:8], s[0:1], v6, s17, 0
	v_add_co_u32_e32 v2, vcc, v2, v7
	v_addc_co_u32_e32 v2, vcc, v17, v8, vcc
	v_addc_co_u32_e32 v7, vcc, 0, v10, vcc
	v_add_co_u32_e32 v10, vcc, v2, v9
	v_addc_co_u32_e32 v17, vcc, 0, v7, vcc
	v_mad_u64_u32 v[7:8], s[0:1], s20, v10, 0
	v_mov_b32_e32 v2, v8
	v_mad_u64_u32 v[8:9], s[0:1], s20, v17, v[2:3]
	v_sub_co_u32_e32 v2, vcc, v5, v7
	v_subb_co_u32_e32 v7, vcc, v6, v8, vcc
	v_subrev_co_u32_e32 v8, vcc, s20, v2
	v_subbrev_co_u32_e32 v9, vcc, 0, v7, vcc
	v_cmp_le_u32_e32 vcc, s20, v8
	v_cndmask_b32_e64 v8, 0, -1, vcc
	v_cmp_eq_u32_e32 vcc, 0, v9
	v_cndmask_b32_e32 v8, -1, v8, vcc
	v_add_co_u32_e32 v9, vcc, 2, v10
	v_addc_co_u32_e32 v18, vcc, 0, v17, vcc
	v_add_co_u32_e32 v19, vcc, 1, v10
	v_cmp_le_u32_e64 s[0:1], s20, v2
	v_addc_co_u32_e32 v20, vcc, 0, v17, vcc
	v_cndmask_b32_e64 v2, 0, -1, s[0:1]
	v_cmp_eq_u32_e64 s[0:1], 0, v7
	v_cmp_ne_u32_e32 vcc, 0, v8
	v_cndmask_b32_e64 v2, -1, v2, s[0:1]
	v_cndmask_b32_e32 v8, v20, v18, vcc
	v_cmp_ne_u32_e64 s[0:1], 0, v2
	v_cndmask_b32_e32 v2, v19, v9, vcc
	v_cndmask_b32_e64 v8, v17, v8, s[0:1]
	v_cndmask_b32_e64 v7, v10, v2, s[0:1]
.LBB5_5:                                ;   in Loop: Header=BB5_3 Depth=1
	s_andn2_saveexec_b64 s[0:1], s[10:11]
	s_cbranch_execz .LBB5_7
; %bb.6:                                ;   in Loop: Header=BB5_3 Depth=1
	v_mul_hi_u32 v2, v5, v15
	v_mul_lo_u32 v7, v2, s20
	v_add_u32_e32 v8, 1, v2
	v_sub_u32_e32 v7, v5, v7
	v_subrev_u32_e32 v9, s20, v7
	v_cmp_le_u32_e32 vcc, s20, v7
	v_cndmask_b32_e32 v7, v7, v9, vcc
	v_cndmask_b32_e32 v2, v2, v8, vcc
	v_add_u32_e32 v8, 1, v2
	v_cmp_le_u32_e32 vcc, s20, v7
	v_cndmask_b32_e32 v7, v2, v8, vcc
	v_mov_b32_e32 v8, v1
.LBB5_7:                                ;   in Loop: Header=BB5_3 Depth=1
	s_or_b64 exec, exec, s[0:1]
	v_add_co_u32_e32 v17, vcc, 32, v5
	v_addc_co_u32_e32 v2, vcc, 0, v6, vcc
	v_cmp_ne_u64_e32 vcc, 0, v[1:2]
                                        ; implicit-def: $vgpr9_vgpr10
	s_and_saveexec_b64 s[0:1], vcc
	s_xor_b64 s[10:11], exec, s[0:1]
	s_cbranch_execz .LBB5_9
; %bb.8:                                ;   in Loop: Header=BB5_3 Depth=1
	s_sub_u32 s9, 0, s20
	v_readfirstlane_b32 s0, v14
	v_readfirstlane_b32 s19, v13
	s_subb_u32 s17, 0, 0
	s_mul_hi_u32 s18, s9, s0
	s_mul_i32 s23, s9, s19
	s_mul_i32 s1, s17, s0
	s_add_i32 s18, s18, s23
	s_add_i32 s18, s18, s1
	s_mul_i32 s24, s9, s0
	s_mul_i32 s23, s0, s18
	s_mul_hi_u32 s25, s0, s24
	s_mul_hi_u32 s1, s0, s18
	s_add_u32 s23, s25, s23
	s_addc_u32 s1, 0, s1
	s_mul_hi_u32 s26, s19, s24
	s_mul_i32 s24, s19, s24
	s_add_u32 s23, s23, s24
	s_mul_hi_u32 s25, s19, s18
	s_addc_u32 s1, s1, s26
	s_addc_u32 s23, s25, 0
	s_mul_i32 s18, s19, s18
	s_add_u32 s1, s1, s18
	s_addc_u32 s18, 0, s23
	s_add_u32 s23, s0, s1
	s_cselect_b64 s[0:1], -1, 0
	s_cmp_lg_u64 s[0:1], 0
	s_addc_u32 s18, s19, s18
	s_mul_i32 s0, s9, s18
	s_mul_hi_u32 s1, s9, s23
	s_add_i32 s0, s1, s0
	s_mul_i32 s17, s17, s23
	s_add_i32 s0, s0, s17
	s_mul_i32 s9, s9, s23
	s_mul_hi_u32 s17, s18, s9
	s_mul_i32 s19, s18, s9
	s_mul_i32 s25, s23, s0
	s_mul_hi_u32 s9, s23, s9
	s_mul_hi_u32 s24, s23, s0
	s_add_u32 s9, s9, s25
	s_addc_u32 s24, 0, s24
	s_add_u32 s9, s9, s19
	s_mul_hi_u32 s1, s18, s0
	s_addc_u32 s9, s24, s17
	s_addc_u32 s1, s1, 0
	s_mul_i32 s0, s18, s0
	s_add_u32 s0, s9, s0
	s_addc_u32 s9, 0, s1
	s_add_u32 s17, s23, s0
	s_cselect_b64 s[0:1], -1, 0
	s_cmp_lg_u64 s[0:1], 0
	s_addc_u32 s9, s18, s9
	v_mad_u64_u32 v[9:10], s[0:1], v17, s9, 0
	v_mul_hi_u32 v6, v17, s17
	v_mad_u64_u32 v[18:19], s[0:1], v2, s9, 0
	v_add_co_u32_e32 v6, vcc, v6, v9
	v_addc_co_u32_e32 v20, vcc, 0, v10, vcc
	v_mad_u64_u32 v[9:10], s[0:1], v2, s17, 0
	v_add_co_u32_e32 v6, vcc, v6, v9
	v_addc_co_u32_e32 v6, vcc, v20, v10, vcc
	v_addc_co_u32_e32 v9, vcc, 0, v19, vcc
	v_add_co_u32_e32 v20, vcc, v6, v18
	v_addc_co_u32_e32 v21, vcc, 0, v9, vcc
	v_mad_u64_u32 v[9:10], s[0:1], s20, v20, 0
	v_mov_b32_e32 v6, v10
	v_mad_u64_u32 v[18:19], s[0:1], s20, v21, v[6:7]
	v_sub_co_u32_e32 v6, vcc, v17, v9
	v_subb_co_u32_e32 v9, vcc, v2, v18, vcc
	v_subrev_co_u32_e32 v10, vcc, s20, v6
	v_subbrev_co_u32_e32 v18, vcc, 0, v9, vcc
	v_cmp_le_u32_e32 vcc, s20, v10
	v_cndmask_b32_e64 v10, 0, -1, vcc
	v_cmp_eq_u32_e32 vcc, 0, v18
	v_cndmask_b32_e32 v10, -1, v10, vcc
	v_add_co_u32_e32 v18, vcc, 2, v20
	v_addc_co_u32_e32 v19, vcc, 0, v21, vcc
	v_add_co_u32_e32 v22, vcc, 1, v20
	v_cmp_le_u32_e64 s[0:1], s20, v6
	v_addc_co_u32_e32 v23, vcc, 0, v21, vcc
	v_cndmask_b32_e64 v6, 0, -1, s[0:1]
	v_cmp_eq_u32_e64 s[0:1], 0, v9
	v_cmp_ne_u32_e32 vcc, 0, v10
	v_cndmask_b32_e64 v6, -1, v6, s[0:1]
	v_cndmask_b32_e32 v10, v23, v19, vcc
	v_cmp_ne_u32_e64 s[0:1], 0, v6
	v_cndmask_b32_e32 v6, v22, v18, vcc
	v_cndmask_b32_e64 v10, v21, v10, s[0:1]
	v_cndmask_b32_e64 v9, v20, v6, s[0:1]
.LBB5_9:                                ;   in Loop: Header=BB5_3 Depth=1
	s_andn2_saveexec_b64 s[0:1], s[10:11]
	s_cbranch_execz .LBB5_11
; %bb.10:                               ;   in Loop: Header=BB5_3 Depth=1
	v_mul_hi_u32 v6, v17, v15
	v_mul_lo_u32 v9, v6, s20
	v_add_u32_e32 v10, 1, v6
	v_sub_u32_e32 v9, v17, v9
	v_subrev_u32_e32 v18, s20, v9
	v_cmp_le_u32_e32 vcc, s20, v9
	v_cndmask_b32_e32 v9, v9, v18, vcc
	v_cndmask_b32_e32 v6, v6, v10, vcc
	v_add_u32_e32 v10, 1, v6
	v_cmp_le_u32_e32 vcc, s20, v9
	v_cndmask_b32_e32 v9, v6, v10, vcc
	v_mov_b32_e32 v10, v1
.LBB5_11:                               ;   in Loop: Header=BB5_3 Depth=1
	s_or_b64 exec, exec, s[0:1]
	s_ashr_i32 s9, s8, 31
	s_lshl_b64 s[10:11], s[8:9], 5
	s_mov_b32 s17, s11
	s_cmp_lg_u64 s[16:17], 0
	s_cbranch_scc0 .LBB5_30
; %bb.12:                               ;   in Loop: Header=BB5_3 Depth=1
	s_sub_u32 s9, 0, s20
	v_readfirstlane_b32 s0, v14
	v_readfirstlane_b32 s19, v13
	s_subb_u32 s17, 0, 0
	s_mul_hi_u32 s18, s9, s0
	s_mul_i32 s23, s9, s19
	s_mul_i32 s1, s17, s0
	s_add_i32 s18, s18, s23
	s_add_i32 s18, s18, s1
	s_mul_i32 s24, s9, s0
	s_mul_i32 s23, s0, s18
	s_mul_hi_u32 s25, s0, s24
	s_mul_hi_u32 s1, s0, s18
	s_add_u32 s23, s25, s23
	s_addc_u32 s1, 0, s1
	s_mul_hi_u32 s26, s19, s24
	s_mul_i32 s24, s19, s24
	s_add_u32 s23, s23, s24
	s_mul_hi_u32 s25, s19, s18
	s_addc_u32 s1, s1, s26
	s_addc_u32 s23, s25, 0
	s_mul_i32 s18, s19, s18
	s_add_u32 s1, s1, s18
	s_addc_u32 s18, 0, s23
	s_add_u32 s23, s0, s1
	s_cselect_b64 s[0:1], -1, 0
	s_cmp_lg_u64 s[0:1], 0
	s_addc_u32 s18, s19, s18
	s_mul_i32 s0, s9, s18
	s_mul_hi_u32 s1, s9, s23
	s_add_i32 s0, s1, s0
	s_mul_i32 s17, s17, s23
	s_add_i32 s0, s0, s17
	s_mul_i32 s9, s9, s23
	s_mul_hi_u32 s17, s18, s9
	s_mul_i32 s19, s18, s9
	s_mul_i32 s25, s23, s0
	s_mul_hi_u32 s9, s23, s9
	s_mul_hi_u32 s24, s23, s0
	s_add_u32 s9, s9, s25
	s_addc_u32 s24, 0, s24
	s_add_u32 s9, s9, s19
	s_mul_hi_u32 s1, s18, s0
	s_addc_u32 s9, s24, s17
	s_addc_u32 s1, s1, 0
	s_mul_i32 s0, s18, s0
	s_add_u32 s0, s9, s0
	s_addc_u32 s9, 0, s1
	s_add_u32 s17, s23, s0
	s_cselect_b64 s[0:1], -1, 0
	s_cmp_lg_u64 s[0:1], 0
	s_addc_u32 s0, s18, s9
	s_mul_i32 s9, s10, s0
	s_mul_hi_u32 s18, s10, s17
	s_mul_hi_u32 s1, s10, s0
	s_add_u32 s9, s18, s9
	s_addc_u32 s1, 0, s1
	s_mul_hi_u32 s19, s11, s17
	s_mul_i32 s17, s11, s17
	s_add_u32 s9, s9, s17
	s_mul_hi_u32 s18, s11, s0
	s_addc_u32 s1, s1, s19
	s_addc_u32 s9, s18, 0
	s_mul_i32 s0, s11, s0
	s_add_u32 s17, s1, s0
	s_addc_u32 s9, 0, s9
	s_add_u32 s18, s17, 1
	s_addc_u32 s19, s9, 0
	s_add_u32 s23, s17, 2
	s_mul_i32 s0, s20, s9
	s_mul_hi_u32 s1, s20, s17
	s_addc_u32 s24, s9, 0
	s_add_i32 s25, s1, s0
	s_mul_i32 s0, s20, s17
	s_sub_u32 s26, s10, s0
	s_cselect_b64 s[0:1], -1, 0
	s_cmp_lg_u64 s[0:1], 0
	s_subb_u32 s11, s11, s25
	s_sub_u32 s25, s26, s20
	s_cselect_b64 s[0:1], -1, 0
	s_cmp_lg_u64 s[0:1], 0
	s_subb_u32 s0, s11, 0
	s_cmp_ge_u32 s25, s20
	s_cselect_b32 s1, -1, 0
	s_cmp_eq_u32 s0, 0
	s_cselect_b32 s0, s1, -1
	s_cmp_lg_u32 s0, 0
	s_cselect_b32 s0, s23, s18
	s_cselect_b32 s1, s24, s19
	s_cmp_ge_u32 s26, s20
	s_cselect_b32 s18, -1, 0
	s_cmp_eq_u32 s11, 0
	s_cselect_b32 s11, s18, -1
	s_cmp_lg_u32 s11, 0
	s_cselect_b32 s1, s1, s9
	s_cselect_b32 s0, s0, s17
	s_cbranch_execnz .LBB5_14
.LBB5_13:                               ;   in Loop: Header=BB5_3 Depth=1
	v_readfirstlane_b32 s0, v12
	s_mul_i32 s1, s22, s0
	s_mul_hi_u32 s1, s0, s1
	s_add_i32 s0, s0, s1
	s_mul_hi_u32 s0, s10, s0
	s_mul_i32 s9, s0, s20
	s_sub_i32 s9, s10, s9
	s_add_i32 s1, s0, 1
	s_sub_i32 s10, s9, s20
	s_cmp_ge_u32 s9, s20
	s_cselect_b32 s0, s1, s0
	s_cselect_b32 s9, s10, s9
	s_add_i32 s1, s0, 1
	s_cmp_ge_u32 s9, s20
	s_cselect_b32 s0, s1, s0
	s_mov_b32 s1, s16
.LBB5_14:                               ;   in Loop: Header=BB5_3 Depth=1
	s_addk_i32 s8, 0x100
	s_ashr_i32 s9, s8, 31
	s_lshl_b64 s[8:9], s[8:9], 5
	s_mov_b32 s17, s9
	s_cmp_lg_u64 s[16:17], 0
	s_cbranch_scc0 .LBB5_31
; %bb.15:                               ;   in Loop: Header=BB5_3 Depth=1
	s_sub_u32 s17, 0, s20
	v_readfirstlane_b32 s10, v14
	v_readfirstlane_b32 s23, v13
	s_subb_u32 s18, 0, 0
	s_mul_hi_u32 s19, s17, s10
	s_mul_i32 s24, s17, s23
	s_mul_i32 s11, s18, s10
	s_add_i32 s19, s19, s24
	s_add_i32 s19, s19, s11
	s_mul_i32 s25, s17, s10
	s_mul_i32 s24, s10, s19
	s_mul_hi_u32 s26, s10, s25
	s_mul_hi_u32 s11, s10, s19
	s_add_u32 s24, s26, s24
	s_addc_u32 s11, 0, s11
	s_mul_hi_u32 s27, s23, s25
	s_mul_i32 s25, s23, s25
	s_add_u32 s24, s24, s25
	s_mul_hi_u32 s26, s23, s19
	s_addc_u32 s11, s11, s27
	s_addc_u32 s24, s26, 0
	s_mul_i32 s19, s23, s19
	s_add_u32 s11, s11, s19
	s_addc_u32 s19, 0, s24
	s_add_u32 s24, s10, s11
	s_cselect_b64 s[10:11], -1, 0
	s_cmp_lg_u64 s[10:11], 0
	s_addc_u32 s19, s23, s19
	s_mul_i32 s10, s17, s19
	s_mul_hi_u32 s11, s17, s24
	s_add_i32 s10, s11, s10
	s_mul_i32 s18, s18, s24
	s_add_i32 s10, s10, s18
	s_mul_i32 s17, s17, s24
	s_mul_hi_u32 s18, s19, s17
	s_mul_i32 s23, s19, s17
	s_mul_i32 s26, s24, s10
	s_mul_hi_u32 s17, s24, s17
	s_mul_hi_u32 s25, s24, s10
	s_add_u32 s17, s17, s26
	s_addc_u32 s25, 0, s25
	s_add_u32 s17, s17, s23
	s_mul_hi_u32 s11, s19, s10
	s_addc_u32 s17, s25, s18
	s_addc_u32 s11, s11, 0
	s_mul_i32 s10, s19, s10
	s_add_u32 s10, s17, s10
	s_addc_u32 s17, 0, s11
	s_add_u32 s18, s24, s10
	s_cselect_b64 s[10:11], -1, 0
	s_cmp_lg_u64 s[10:11], 0
	s_addc_u32 s10, s19, s17
	s_mul_i32 s17, s8, s10
	s_mul_hi_u32 s19, s8, s18
	s_mul_hi_u32 s11, s8, s10
	s_add_u32 s17, s19, s17
	s_addc_u32 s11, 0, s11
	s_mul_hi_u32 s23, s9, s18
	s_mul_i32 s18, s9, s18
	s_add_u32 s17, s17, s18
	s_mul_hi_u32 s19, s9, s10
	s_addc_u32 s11, s11, s23
	s_addc_u32 s17, s19, 0
	s_mul_i32 s10, s9, s10
	s_add_u32 s18, s11, s10
	s_addc_u32 s17, 0, s17
	s_add_u32 s19, s18, 1
	s_addc_u32 s23, s17, 0
	s_add_u32 s24, s18, 2
	s_mul_i32 s10, s20, s17
	s_mul_hi_u32 s11, s20, s18
	s_addc_u32 s25, s17, 0
	s_add_i32 s26, s11, s10
	s_mul_i32 s10, s20, s18
	s_sub_u32 s27, s8, s10
	s_cselect_b64 s[10:11], -1, 0
	s_cmp_lg_u64 s[10:11], 0
	s_subb_u32 s26, s9, s26
	s_sub_u32 s28, s27, s20
	s_cselect_b64 s[10:11], -1, 0
	s_cmp_lg_u64 s[10:11], 0
	s_subb_u32 s10, s26, 0
	s_cmp_ge_u32 s28, s20
	s_cselect_b32 s11, -1, 0
	s_cmp_eq_u32 s10, 0
	s_cselect_b32 s10, s11, -1
	s_cmp_lg_u32 s10, 0
	s_cselect_b32 s10, s24, s19
	s_cselect_b32 s11, s25, s23
	s_cmp_ge_u32 s27, s20
	s_cselect_b32 s19, -1, 0
	s_cmp_eq_u32 s26, 0
	s_cselect_b32 s19, s19, -1
	s_cmp_lg_u32 s19, 0
	s_cselect_b32 s11, s11, s17
	s_cselect_b32 s10, s10, s18
	s_cbranch_execnz .LBB5_17
.LBB5_16:                               ;   in Loop: Header=BB5_3 Depth=1
	v_readfirstlane_b32 s10, v12
	s_mul_i32 s11, s22, s10
	s_mul_hi_u32 s11, s10, s11
	s_add_i32 s10, s10, s11
	s_mul_hi_u32 s10, s8, s10
	s_mul_i32 s17, s10, s20
	s_sub_i32 s17, s8, s17
	s_add_i32 s11, s10, 1
	s_sub_i32 s18, s17, s20
	s_cmp_ge_u32 s17, s20
	s_cselect_b32 s10, s11, s10
	s_cselect_b32 s17, s18, s17
	s_add_i32 s11, s10, 1
	s_cmp_ge_u32 s17, s20
	s_cselect_b32 s10, s11, s10
	s_mov_b32 s11, s16
.LBB5_17:                               ;   in Loop: Header=BB5_3 Depth=1
	s_and_b32 s17, s0, 0xffffff00
	v_mov_b32_e32 v18, s17
	v_mov_b32_e32 v19, s1
	v_cmp_lt_u64_e32 vcc, s[4:5], v[18:19]
	v_mov_b32_e32 v18, s4
	s_and_b64 s[0:1], vcc, exec
	s_mul_i32 s0, s11, s20
	s_mul_hi_u32 s1, s10, s20
	s_cselect_b32 s17, s4, s17
	s_add_i32 s1, s1, s0
	s_mul_i32 s0, s10, s20
	s_sub_u32 s0, s8, s0
	s_subb_u32 s1, s9, s1
	v_cmp_lt_u64_e32 vcc, s[4:5], v[7:8]
	s_cmp_lg_u64 s[0:1], 0
	s_cselect_b64 s[0:1], -1, 0
	v_cndmask_b32_e32 v6, v7, v18, vcc
	v_cndmask_b32_e64 v7, 0, 1, s[0:1]
	v_mov_b32_e32 v8, s11
	v_add_co_u32_e32 v19, vcc, s10, v7
	v_addc_co_u32_e32 v20, vcc, 0, v8, vcc
	v_and_b32_e32 v7, 0xff, v19
	v_mov_b32_e32 v8, v1
	v_cmp_eq_u64_e32 vcc, 0, v[7:8]
	v_cndmask_b32_e64 v7, v16, 0, vcc
	v_add_co_u32_e32 v7, vcc, v7, v19
	v_addc_co_u32_e32 v8, vcc, 0, v20, vcc
	v_and_b32_e32 v7, 0xffffff00, v7
	v_cmp_lt_u64_e32 vcc, s[4:5], v[7:8]
	v_cndmask_b32_e32 v19, v7, v18, vcc
	v_cmp_ge_i32_e32 vcc, s17, v19
	v_mov_b32_e32 v18, 0
	s_cbranch_vccnz .LBB5_28
; %bb.18:                               ;   in Loop: Header=BB5_3 Depth=1
	v_mad_u64_u32 v[7:8], s[0:1], v9, s20, 0
	v_mov_b32_e32 v18, 0
	v_mad_u64_u32 v[20:21], s[0:1], v10, s20, v[8:9]
	v_sub_co_u32_e32 v7, vcc, v17, v7
	v_subb_co_u32_e32 v8, vcc, v2, v20, vcc
	v_cmp_ne_u64_e32 vcc, 0, v[7:8]
	v_cndmask_b32_e64 v2, 0, 1, vcc
	v_add_co_u32_e32 v7, vcc, v9, v2
	v_addc_co_u32_e32 v8, vcc, 0, v10, vcc
	v_cmp_lt_u64_e32 vcc, s[4:5], v[7:8]
	v_mov_b32_e32 v2, s4
	v_cndmask_b32_e32 v2, v7, v2, vcc
.LBB5_19:                               ;   Parent Loop BB5_3 Depth=1
                                        ; =>  This Loop Header: Depth=2
                                        ;       Child Loop BB5_23 Depth 3
	v_add_u32_e32 v7, s17, v0
	v_ashrrev_i32_e32 v8, 31, v7
	v_cmp_gt_u64_e32 vcc, s[2:3], v[7:8]
	s_waitcnt vmcnt(0) lgkmcnt(0)
	s_barrier
	s_and_saveexec_b64 s[0:1], vcc
	s_cbranch_execz .LBB5_21
; %bb.20:                               ;   in Loop: Header=BB5_19 Depth=2
	v_mov_b32_e32 v9, s15
	v_add_co_u32_e32 v7, vcc, s14, v7
	v_addc_co_u32_e32 v8, vcc, v9, v8, vcc
	global_load_ubyte v7, v[7:8], off
	s_waitcnt vmcnt(0)
	v_sub_u16_e32 v7, v7, v11
	ds_write_b8 v0, v7
.LBB5_21:                               ;   in Loop: Header=BB5_19 Depth=2
	s_or_b64 exec, exec, s[0:1]
	s_add_i32 s10, s17, 0x100
	v_max_i32_e32 v7, s17, v6
	v_min_i32_e32 v8, s10, v2
	v_cmp_lt_i32_e32 vcc, v7, v8
	s_waitcnt lgkmcnt(0)
	s_barrier
	s_and_saveexec_b64 s[0:1], vcc
	s_cbranch_execz .LBB5_25
; %bb.22:                               ;   in Loop: Header=BB5_19 Depth=2
	s_mov_b64 s[8:9], 0
.LBB5_23:                               ;   Parent Loop BB5_3 Depth=1
                                        ;     Parent Loop BB5_19 Depth=2
                                        ; =>    This Inner Loop Header: Depth=3
	v_subrev_u32_e32 v9, s17, v7
	v_mul_lo_u32 v10, v7, s20
	ds_read_u8 v9, v9
	v_add_u32_e32 v7, 1, v7
	v_cmp_ge_i32_e32 vcc, v7, v8
	v_sub_u32_e32 v10, v10, v5
	v_sub_u32_e32 v17, 0, v10
	s_or_b64 s[8:9], vcc, s[8:9]
	s_waitcnt lgkmcnt(0)
	v_lshlrev_b32_e32 v20, v10, v9
	v_lshrrev_b32_e32 v9, v17, v9
	v_cmp_lt_i32_e32 vcc, 0, v10
	v_cndmask_b32_e32 v9, v9, v20, vcc
	v_or_b32_e32 v18, v9, v18
	s_andn2_b64 exec, exec, s[8:9]
	s_cbranch_execnz .LBB5_23
; %bb.24:                               ;   in Loop: Header=BB5_19 Depth=2
	s_or_b64 exec, exec, s[8:9]
.LBB5_25:                               ;   in Loop: Header=BB5_19 Depth=2
	s_or_b64 exec, exec, s[0:1]
; %bb.26:                               ;   in Loop: Header=BB5_19 Depth=2
	v_cmp_lt_i32_e32 vcc, s10, v19
	s_cbranch_vccz .LBB5_28
; %bb.27:                               ;   in Loop: Header=BB5_19 Depth=2
	s_mov_b32 s17, s10
	s_branch .LBB5_19
.LBB5_28:                               ;   in Loop: Header=BB5_3 Depth=1
	v_ashrrev_i32_e32 v7, 31, v6
	v_cmp_gt_u64_e32 vcc, s[2:3], v[6:7]
	s_and_saveexec_b64 s[0:1], vcc
	s_cbranch_execz .LBB5_2
; %bb.29:                               ;   in Loop: Header=BB5_3 Depth=1
	v_lshlrev_b64 v[2:3], 2, v[3:4]
	v_mov_b32_e32 v4, s13
	v_add_co_u32_e32 v2, vcc, s12, v2
	v_addc_co_u32_e32 v3, vcc, v4, v3, vcc
	global_store_dword v[2:3], v18, off
	s_branch .LBB5_2
.LBB5_30:                               ;   in Loop: Header=BB5_3 Depth=1
                                        ; implicit-def: $sgpr0_sgpr1
	s_branch .LBB5_13
.LBB5_31:                               ;   in Loop: Header=BB5_3 Depth=1
                                        ; implicit-def: $sgpr10_sgpr11
	s_branch .LBB5_16
.LBB5_32:
	s_endpgm
	.section	.rodata,"a",@progbits
	.p2align	6, 0x0
	.amdhsa_kernel _Z13bitPackKernelIhjEvPKhPKT_PT0_S4_PKm
		.amdhsa_group_segment_fixed_size 256
		.amdhsa_private_segment_fixed_size 0
		.amdhsa_kernarg_size 296
		.amdhsa_user_sgpr_count 6
		.amdhsa_user_sgpr_private_segment_buffer 1
		.amdhsa_user_sgpr_dispatch_ptr 0
		.amdhsa_user_sgpr_queue_ptr 0
		.amdhsa_user_sgpr_kernarg_segment_ptr 1
		.amdhsa_user_sgpr_dispatch_id 0
		.amdhsa_user_sgpr_flat_scratch_init 0
		.amdhsa_user_sgpr_private_segment_size 0
		.amdhsa_uses_dynamic_stack 0
		.amdhsa_system_sgpr_private_segment_wavefront_offset 0
		.amdhsa_system_sgpr_workgroup_id_x 1
		.amdhsa_system_sgpr_workgroup_id_y 0
		.amdhsa_system_sgpr_workgroup_id_z 0
		.amdhsa_system_sgpr_workgroup_info 0
		.amdhsa_system_vgpr_workitem_id 0
		.amdhsa_next_free_vgpr 24
		.amdhsa_next_free_sgpr 29
		.amdhsa_reserve_vcc 1
		.amdhsa_reserve_flat_scratch 0
		.amdhsa_float_round_mode_32 0
		.amdhsa_float_round_mode_16_64 0
		.amdhsa_float_denorm_mode_32 3
		.amdhsa_float_denorm_mode_16_64 3
		.amdhsa_dx10_clamp 1
		.amdhsa_ieee_mode 1
		.amdhsa_fp16_overflow 0
		.amdhsa_exception_fp_ieee_invalid_op 0
		.amdhsa_exception_fp_denorm_src 0
		.amdhsa_exception_fp_ieee_div_zero 0
		.amdhsa_exception_fp_ieee_overflow 0
		.amdhsa_exception_fp_ieee_underflow 0
		.amdhsa_exception_fp_ieee_inexact 0
		.amdhsa_exception_int_div_zero 0
	.end_amdhsa_kernel
	.section	.text._Z13bitPackKernelIhjEvPKhPKT_PT0_S4_PKm,"axG",@progbits,_Z13bitPackKernelIhjEvPKhPKT_PT0_S4_PKm,comdat
.Lfunc_end5:
	.size	_Z13bitPackKernelIhjEvPKhPKT_PT0_S4_PKm, .Lfunc_end5-_Z13bitPackKernelIhjEvPKhPKT_PT0_S4_PKm
                                        ; -- End function
	.set _Z13bitPackKernelIhjEvPKhPKT_PT0_S4_PKm.num_vgpr, 24
	.set _Z13bitPackKernelIhjEvPKhPKT_PT0_S4_PKm.num_agpr, 0
	.set _Z13bitPackKernelIhjEvPKhPKT_PT0_S4_PKm.numbered_sgpr, 29
	.set _Z13bitPackKernelIhjEvPKhPKT_PT0_S4_PKm.num_named_barrier, 0
	.set _Z13bitPackKernelIhjEvPKhPKT_PT0_S4_PKm.private_seg_size, 0
	.set _Z13bitPackKernelIhjEvPKhPKT_PT0_S4_PKm.uses_vcc, 1
	.set _Z13bitPackKernelIhjEvPKhPKT_PT0_S4_PKm.uses_flat_scratch, 0
	.set _Z13bitPackKernelIhjEvPKhPKT_PT0_S4_PKm.has_dyn_sized_stack, 0
	.set _Z13bitPackKernelIhjEvPKhPKT_PT0_S4_PKm.has_recursion, 0
	.set _Z13bitPackKernelIhjEvPKhPKT_PT0_S4_PKm.has_indirect_call, 0
	.section	.AMDGPU.csdata,"",@progbits
; Kernel info:
; codeLenInByte = 2696
; TotalNumSgprs: 33
; NumVgprs: 24
; ScratchSize: 0
; MemoryBound: 0
; FloatMode: 240
; IeeeMode: 1
; LDSByteSize: 256 bytes/workgroup (compile time only)
; SGPRBlocks: 4
; VGPRBlocks: 5
; NumSGPRsForWavesPerEU: 33
; NumVGPRsForWavesPerEU: 24
; Occupancy: 10
; WaveLimiterHint : 0
; COMPUTE_PGM_RSRC2:SCRATCH_EN: 0
; COMPUTE_PGM_RSRC2:USER_SGPR: 6
; COMPUTE_PGM_RSRC2:TRAP_HANDLER: 0
; COMPUTE_PGM_RSRC2:TGID_X_EN: 1
; COMPUTE_PGM_RSRC2:TGID_Y_EN: 0
; COMPUTE_PGM_RSRC2:TGID_Z_EN: 0
; COMPUTE_PGM_RSRC2:TIDIG_COMP_CNT: 0
	.section	.text._Z23bitPackConfigScanKernelIssEvPT_S1_PKT0_PKm,"axG",@progbits,_Z23bitPackConfigScanKernelIssEvPT_S1_PKT0_PKm,comdat
	.protected	_Z23bitPackConfigScanKernelIssEvPT_S1_PKT0_PKm ; -- Begin function _Z23bitPackConfigScanKernelIssEvPT_S1_PKT0_PKm
	.globl	_Z23bitPackConfigScanKernelIssEvPT_S1_PKT0_PKm
	.p2align	8
	.type	_Z23bitPackConfigScanKernelIssEvPT_S1_PKT0_PKm,@function
_Z23bitPackConfigScanKernelIssEvPT_S1_PKT0_PKm: ; @_Z23bitPackConfigScanKernelIssEvPT_S1_PKT0_PKm
; %bb.0:
	s_load_dwordx8 s[8:15], s[4:5], 0x0
	s_waitcnt lgkmcnt(0)
	s_load_dwordx2 s[0:1], s[14:15], 0x0
	s_mov_b32 s15, 0
	s_waitcnt lgkmcnt(0)
	s_lshr_b64 s[2:3], s[0:1], 8
	s_and_b32 s14, s0, 0xff
	s_cmp_lg_u64 s[14:15], 0
	s_cselect_b64 s[14:15], -1, 0
	s_cmp_lg_u64 s[14:15], 0
	s_addc_u32 s14, s2, 0
	s_cmp_ge_u32 s6, s14
	s_cbranch_scc1 .LBB6_82
; %bb.1:
	s_cmp_lt_i32 s6, s14
	s_cbranch_scc1 .LBB6_83
; %bb.2:
	s_cbranch_execz .LBB6_84
; %bb.3:
	s_mov_b32 s7, 0
	v_mov_b32_e32 v5, 0
	v_mov_b32_e32 v4, 0
.LBB6_4:
	v_lshlrev_b32_e32 v3, 1, v0
	s_movk_i32 s0, 0x7f
	v_cmp_lt_u32_e32 vcc, s0, v0
	v_add_u32_e32 v1, 0xffffff00, v3
	ds_write_b16 v3, v5 offset:512
	ds_write_b16 v3, v4
	s_waitcnt lgkmcnt(0)
	s_barrier
	s_and_saveexec_b64 s[0:1], vcc
	s_xor_b64 s[2:3], exec, s[0:1]
	s_cbranch_execz .LBB6_8
; %bb.5:
	v_cmp_gt_i32_e64 s[0:1], s7, v0
	s_and_saveexec_b64 s[4:5], s[0:1]
	s_cbranch_execz .LBB6_7
; %bb.6:
	ds_read_u16 v2, v1
	ds_read_u16 v4, v3
	s_waitcnt lgkmcnt(0)
	v_max_i16_e32 v2, v2, v4
	ds_write_b16 v1, v2
.LBB6_7:
	s_or_b64 exec, exec, s[4:5]
.LBB6_8:
	s_or_saveexec_b64 s[2:3], s[2:3]
	v_add_u32_e32 v2, 0x200, v3
	s_xor_b64 exec, exec, s[2:3]
	s_cbranch_execz .LBB6_12
; %bb.9:
	v_or_b32_e32 v4, 0x80, v0
	v_cmp_gt_i32_e64 s[0:1], s7, v4
	s_and_saveexec_b64 s[4:5], s[0:1]
	s_cbranch_execz .LBB6_11
; %bb.10:
	ds_read_u16 v4, v2
	ds_read_u16 v5, v2 offset:256
	s_waitcnt lgkmcnt(0)
	v_min_i16_e32 v4, v4, v5
	ds_write_b16 v2, v4
.LBB6_11:
	s_or_b64 exec, exec, s[4:5]
.LBB6_12:
	s_or_b64 exec, exec, s[2:3]
	s_waitcnt lgkmcnt(0)
	s_barrier
	s_and_saveexec_b64 s[0:1], vcc
	s_xor_b64 s[2:3], exec, s[0:1]
	s_cbranch_execz .LBB6_17
; %bb.13:
	s_movk_i32 s0, 0xc0
	v_cmp_gt_u32_e64 s[0:1], s0, v0
	s_and_saveexec_b64 s[4:5], s[0:1]
	s_cbranch_execz .LBB6_16
; %bb.14:
	v_subrev_u32_e32 v4, 64, v0
	v_cmp_gt_i32_e64 s[0:1], s7, v4
	s_and_b64 exec, exec, s[0:1]
	s_cbranch_execz .LBB6_16
; %bb.15:
	v_add_u32_e32 v4, 0xffffff80, v3
	ds_read_u16 v5, v1
	ds_read_u16 v4, v4
	s_waitcnt lgkmcnt(0)
	v_max_i16_e32 v4, v5, v4
	ds_write_b16 v1, v4
.LBB6_16:
	s_or_b64 exec, exec, s[4:5]
.LBB6_17:
	s_andn2_saveexec_b64 s[2:3], s[2:3]
	s_cbranch_execz .LBB6_22
; %bb.18:
	v_cmp_gt_u32_e64 s[0:1], 64, v0
	s_and_saveexec_b64 s[4:5], s[0:1]
	s_cbranch_execz .LBB6_21
; %bb.19:
	v_or_b32_e32 v4, 64, v0
	v_cmp_gt_i32_e64 s[0:1], s7, v4
	s_and_b64 exec, exec, s[0:1]
	s_cbranch_execz .LBB6_21
; %bb.20:
	ds_read_u16 v4, v2
	ds_read_u16 v5, v2 offset:128
	s_waitcnt lgkmcnt(0)
	v_min_i16_e32 v4, v4, v5
	ds_write_b16 v2, v4
.LBB6_21:
	s_or_b64 exec, exec, s[4:5]
.LBB6_22:
	s_or_b64 exec, exec, s[2:3]
	s_waitcnt lgkmcnt(0)
	s_barrier
	s_and_saveexec_b64 s[0:1], vcc
	s_xor_b64 s[2:3], exec, s[0:1]
	s_cbranch_execz .LBB6_27
; %bb.23:
	s_movk_i32 s0, 0xa0
	v_cmp_gt_u32_e64 s[0:1], s0, v0
	s_and_saveexec_b64 s[4:5], s[0:1]
	s_cbranch_execz .LBB6_26
; %bb.24:
	v_add_u32_e32 v4, 0xffffffa0, v0
	v_cmp_gt_i32_e64 s[0:1], s7, v4
	s_and_b64 exec, exec, s[0:1]
	s_cbranch_execz .LBB6_26
; %bb.25:
	v_add_u32_e32 v4, 0xffffff40, v3
	ds_read_u16 v5, v1
	ds_read_u16 v4, v4
	s_waitcnt lgkmcnt(0)
	v_max_i16_e32 v4, v5, v4
	ds_write_b16 v1, v4
.LBB6_26:
	s_or_b64 exec, exec, s[4:5]
.LBB6_27:
	s_andn2_saveexec_b64 s[2:3], s[2:3]
	s_cbranch_execz .LBB6_32
; %bb.28:
	v_cmp_gt_u32_e64 s[0:1], 32, v0
	s_and_saveexec_b64 s[4:5], s[0:1]
	s_cbranch_execz .LBB6_31
; %bb.29:
	v_or_b32_e32 v4, 32, v0
	v_cmp_gt_i32_e64 s[0:1], s7, v4
	s_and_b64 exec, exec, s[0:1]
	s_cbranch_execz .LBB6_31
; %bb.30:
	ds_read_u16 v4, v2
	ds_read_u16 v5, v2 offset:64
	s_waitcnt lgkmcnt(0)
	v_min_i16_e32 v4, v4, v5
	ds_write_b16 v2, v4
.LBB6_31:
	s_or_b64 exec, exec, s[4:5]
.LBB6_32:
	s_or_b64 exec, exec, s[2:3]
	s_waitcnt lgkmcnt(0)
	s_barrier
	s_and_saveexec_b64 s[0:1], vcc
	s_xor_b64 s[2:3], exec, s[0:1]
	s_cbranch_execz .LBB6_37
; %bb.33:
	s_movk_i32 s0, 0x90
	v_cmp_gt_u32_e64 s[0:1], s0, v0
	s_and_saveexec_b64 s[4:5], s[0:1]
	s_cbranch_execz .LBB6_36
; %bb.34:
	v_add_u32_e32 v4, 0xffffff90, v0
	v_cmp_gt_i32_e64 s[0:1], s7, v4
	s_and_b64 exec, exec, s[0:1]
	s_cbranch_execz .LBB6_36
; %bb.35:
	v_add_u32_e32 v4, 0xffffff20, v3
	ds_read_u16 v5, v1
	ds_read_u16 v4, v4
	s_waitcnt lgkmcnt(0)
	v_max_i16_e32 v4, v5, v4
	ds_write_b16 v1, v4
.LBB6_36:
	s_or_b64 exec, exec, s[4:5]
.LBB6_37:
	;; [unrolled: 46-line block ×5, first 2 shown]
	s_andn2_saveexec_b64 s[2:3], s[2:3]
	s_cbranch_execz .LBB6_72
; %bb.68:
	v_cmp_gt_u32_e64 s[0:1], 2, v0
	s_and_saveexec_b64 s[4:5], s[0:1]
	s_cbranch_execz .LBB6_71
; %bb.69:
	v_or_b32_e32 v3, 2, v0
	v_cmp_gt_i32_e64 s[0:1], s7, v3
	s_and_b64 exec, exec, s[0:1]
	s_cbranch_execz .LBB6_71
; %bb.70:
	ds_read_u16 v3, v2
	ds_read_u16 v4, v2 offset:4
	s_waitcnt lgkmcnt(0)
	v_min_i16_e32 v3, v3, v4
	ds_write_b16 v2, v3
.LBB6_71:
	s_or_b64 exec, exec, s[4:5]
.LBB6_72:
	s_or_b64 exec, exec, s[2:3]
	s_cmp_gt_i32 s7, 1
	s_cselect_b64 s[0:1], -1, 0
	s_waitcnt lgkmcnt(0)
	s_barrier
	s_and_saveexec_b64 s[2:3], vcc
	s_xor_b64 s[2:3], exec, s[2:3]
	s_cbranch_execz .LBB6_76
; %bb.73:
	s_movk_i32 s4, 0x80
	v_cmp_eq_u32_e32 vcc, s4, v0
	s_and_b64 s[12:13], vcc, s[0:1]
	s_and_saveexec_b64 s[4:5], s[12:13]
	s_cbranch_execz .LBB6_75
; %bb.74:
	v_mov_b32_e32 v2, 0
	ds_read_u16 v3, v1
	ds_read_u16 v2, v2 offset:2
	s_waitcnt lgkmcnt(0)
	v_max_i16_e32 v2, v3, v2
	ds_write_b16 v1, v2
.LBB6_75:
	s_or_b64 exec, exec, s[4:5]
                                        ; implicit-def: $vgpr2
.LBB6_76:
	s_andn2_saveexec_b64 s[2:3], s[2:3]
	s_cbranch_execz .LBB6_80
; %bb.77:
	v_cmp_eq_u32_e32 vcc, 0, v0
	s_and_b64 s[4:5], vcc, s[0:1]
	s_and_saveexec_b64 s[0:1], s[4:5]
	s_cbranch_execz .LBB6_79
; %bb.78:
	v_mov_b32_e32 v1, 0
	ds_read_u16 v3, v2
	ds_read_u16 v1, v1 offset:514
	s_waitcnt lgkmcnt(0)
	v_min_i16_e32 v1, v3, v1
	ds_write_b16 v2, v1
.LBB6_79:
	s_or_b64 exec, exec, s[0:1]
.LBB6_80:
	s_or_b64 exec, exec, s[2:3]
	s_mov_b32 s7, 0
	v_cmp_eq_u32_e32 vcc, 0, v0
	s_waitcnt lgkmcnt(0)
	s_barrier
	s_and_saveexec_b64 s[0:1], vcc
	s_cbranch_execz .LBB6_82
; %bb.81:
	v_mov_b32_e32 v0, 0
	s_lshl_b64 s[0:1], s[6:7], 1
	ds_read_u16 v1, v0 offset:512
	ds_read_u16 v2, v0
	s_add_u32 s2, s10, s0
	s_addc_u32 s3, s11, s1
	s_add_u32 s0, s8, s0
	s_addc_u32 s1, s9, s1
	s_waitcnt lgkmcnt(1)
	global_store_short v0, v1, s[0:1]
	s_waitcnt lgkmcnt(0)
	global_store_short v0, v2, s[2:3]
.LBB6_82:
	s_endpgm
.LBB6_83:
.LBB6_84:
	s_load_dword s2, s[4:5], 0x20
	s_lshl_b32 s1, s6, 8
	v_mov_b32_e32 v2, 0
	v_add_u32_e32 v1, s1, v0
	s_sub_i32 s3, s0, s1
	s_waitcnt lgkmcnt(0)
	s_lshl_b32 s4, s2, 8
	s_mov_b32 s5, 0
	v_mov_b32_e32 v5, v2
	v_mov_b32_e32 v4, v2
	s_mov_b32 s7, 0
	s_branch .LBB6_86
.LBB6_85:                               ;   in Loop: Header=BB6_86 Depth=1
	s_or_b64 exec, exec, s[0:1]
	s_add_i32 s5, s5, s2
	s_max_i32 s7, s7, s15
	s_add_i32 s0, s6, s5
	s_sub_i32 s3, s3, s4
	s_cmp_ge_i32 s0, s14
	v_add_u32_e32 v1, s4, v1
	s_cbranch_scc1 .LBB6_4
.LBB6_86:                               ; =>This Inner Loop Header: Depth=1
	s_min_i32 s15, s3, 0x100
	v_cmp_gt_u32_e32 vcc, s15, v0
	s_and_saveexec_b64 s[0:1], vcc
	s_cbranch_execz .LBB6_85
; %bb.87:                               ;   in Loop: Header=BB6_86 Depth=1
	v_lshlrev_b64 v[6:7], 1, v[1:2]
	v_mov_b32_e32 v3, s13
	v_add_co_u32_e32 v6, vcc, s12, v6
	v_addc_co_u32_e32 v7, vcc, v3, v7, vcc
	global_load_ushort v3, v[6:7], off
	s_cmp_eq_u32 s5, 0
	s_cselect_b64 vcc, -1, 0
	s_waitcnt vmcnt(0)
	v_min_i16_e32 v5, v3, v5
	v_max_i16_e32 v4, v3, v4
	v_cndmask_b32_e32 v4, v4, v3, vcc
	v_cndmask_b32_e32 v5, v5, v3, vcc
	s_branch .LBB6_85
	.section	.rodata,"a",@progbits
	.p2align	6, 0x0
	.amdhsa_kernel _Z23bitPackConfigScanKernelIssEvPT_S1_PKT0_PKm
		.amdhsa_group_segment_fixed_size 1024
		.amdhsa_private_segment_fixed_size 0
		.amdhsa_kernarg_size 288
		.amdhsa_user_sgpr_count 6
		.amdhsa_user_sgpr_private_segment_buffer 1
		.amdhsa_user_sgpr_dispatch_ptr 0
		.amdhsa_user_sgpr_queue_ptr 0
		.amdhsa_user_sgpr_kernarg_segment_ptr 1
		.amdhsa_user_sgpr_dispatch_id 0
		.amdhsa_user_sgpr_flat_scratch_init 0
		.amdhsa_user_sgpr_private_segment_size 0
		.amdhsa_uses_dynamic_stack 0
		.amdhsa_system_sgpr_private_segment_wavefront_offset 0
		.amdhsa_system_sgpr_workgroup_id_x 1
		.amdhsa_system_sgpr_workgroup_id_y 0
		.amdhsa_system_sgpr_workgroup_id_z 0
		.amdhsa_system_sgpr_workgroup_info 0
		.amdhsa_system_vgpr_workitem_id 0
		.amdhsa_next_free_vgpr 8
		.amdhsa_next_free_sgpr 16
		.amdhsa_reserve_vcc 1
		.amdhsa_reserve_flat_scratch 0
		.amdhsa_float_round_mode_32 0
		.amdhsa_float_round_mode_16_64 0
		.amdhsa_float_denorm_mode_32 3
		.amdhsa_float_denorm_mode_16_64 3
		.amdhsa_dx10_clamp 1
		.amdhsa_ieee_mode 1
		.amdhsa_fp16_overflow 0
		.amdhsa_exception_fp_ieee_invalid_op 0
		.amdhsa_exception_fp_denorm_src 0
		.amdhsa_exception_fp_ieee_div_zero 0
		.amdhsa_exception_fp_ieee_overflow 0
		.amdhsa_exception_fp_ieee_underflow 0
		.amdhsa_exception_fp_ieee_inexact 0
		.amdhsa_exception_int_div_zero 0
	.end_amdhsa_kernel
	.section	.text._Z23bitPackConfigScanKernelIssEvPT_S1_PKT0_PKm,"axG",@progbits,_Z23bitPackConfigScanKernelIssEvPT_S1_PKT0_PKm,comdat
.Lfunc_end6:
	.size	_Z23bitPackConfigScanKernelIssEvPT_S1_PKT0_PKm, .Lfunc_end6-_Z23bitPackConfigScanKernelIssEvPT_S1_PKT0_PKm
                                        ; -- End function
	.set _Z23bitPackConfigScanKernelIssEvPT_S1_PKT0_PKm.num_vgpr, 8
	.set _Z23bitPackConfigScanKernelIssEvPT_S1_PKT0_PKm.num_agpr, 0
	.set _Z23bitPackConfigScanKernelIssEvPT_S1_PKT0_PKm.numbered_sgpr, 16
	.set _Z23bitPackConfigScanKernelIssEvPT_S1_PKT0_PKm.num_named_barrier, 0
	.set _Z23bitPackConfigScanKernelIssEvPT_S1_PKT0_PKm.private_seg_size, 0
	.set _Z23bitPackConfigScanKernelIssEvPT_S1_PKT0_PKm.uses_vcc, 1
	.set _Z23bitPackConfigScanKernelIssEvPT_S1_PKT0_PKm.uses_flat_scratch, 0
	.set _Z23bitPackConfigScanKernelIssEvPT_S1_PKT0_PKm.has_dyn_sized_stack, 0
	.set _Z23bitPackConfigScanKernelIssEvPT_S1_PKT0_PKm.has_recursion, 0
	.set _Z23bitPackConfigScanKernelIssEvPT_S1_PKT0_PKm.has_indirect_call, 0
	.section	.AMDGPU.csdata,"",@progbits
; Kernel info:
; codeLenInByte = 1840
; TotalNumSgprs: 20
; NumVgprs: 8
; ScratchSize: 0
; MemoryBound: 0
; FloatMode: 240
; IeeeMode: 1
; LDSByteSize: 1024 bytes/workgroup (compile time only)
; SGPRBlocks: 2
; VGPRBlocks: 1
; NumSGPRsForWavesPerEU: 20
; NumVGPRsForWavesPerEU: 8
; Occupancy: 10
; WaveLimiterHint : 0
; COMPUTE_PGM_RSRC2:SCRATCH_EN: 0
; COMPUTE_PGM_RSRC2:USER_SGPR: 6
; COMPUTE_PGM_RSRC2:TRAP_HANDLER: 0
; COMPUTE_PGM_RSRC2:TGID_X_EN: 1
; COMPUTE_PGM_RSRC2:TGID_Y_EN: 0
; COMPUTE_PGM_RSRC2:TGID_Z_EN: 0
; COMPUTE_PGM_RSRC2:TIDIG_COMP_CNT: 0
	.section	.text._Z27bitPackConfigFinalizeKernelIssEvPKT_S2_PhPT0_PKm,"axG",@progbits,_Z27bitPackConfigFinalizeKernelIssEvPKT_S2_PhPT0_PKm,comdat
	.protected	_Z27bitPackConfigFinalizeKernelIssEvPKT_S2_PhPT0_PKm ; -- Begin function _Z27bitPackConfigFinalizeKernelIssEvPKT_S2_PhPT0_PKm
	.globl	_Z27bitPackConfigFinalizeKernelIssEvPKT_S2_PhPT0_PKm
	.p2align	8
	.type	_Z27bitPackConfigFinalizeKernelIssEvPKT_S2_PhPT0_PKm,@function
_Z27bitPackConfigFinalizeKernelIssEvPKT_S2_PhPT0_PKm: ; @_Z27bitPackConfigFinalizeKernelIssEvPKT_S2_PhPT0_PKm
; %bb.0:
	s_load_dwordx2 s[0:1], s[4:5], 0x20
	s_mov_b32 s3, 0
	s_load_dwordx8 s[8:15], s[4:5], 0x0
	v_mov_b32_e32 v3, 0x1000
	v_lshlrev_b32_e32 v7, 1, v0
	s_waitcnt lgkmcnt(0)
	s_load_dwordx2 s[0:1], s[0:1], 0x0
	s_waitcnt lgkmcnt(0)
	s_lshr_b64 s[4:5], s[0:1], 8
	s_and_b32 s2, s0, 0xff
	s_cmp_lg_u64 s[2:3], 0
	s_cselect_b64 s[0:1], -1, 0
	v_cndmask_b32_e64 v1, 0, 1, s[0:1]
	v_mov_b32_e32 v2, s5
	v_add_co_u32_e32 v1, vcc, s4, v1
	v_addc_co_u32_e32 v2, vcc, 0, v2, vcc
	s_mov_b64 s[0:1], 0x1000
	v_cmp_gt_u64_e32 vcc, s[0:1], v[1:2]
	v_cndmask_b32_e32 v8, v3, v1, vcc
	v_cmp_lt_u32_e32 vcc, v0, v8
	s_and_saveexec_b64 s[4:5], vcc
	s_cbranch_execz .LBB7_6
; %bb.1:
	global_load_ushort v9, v7, s[8:9]
	global_load_ushort v10, v7, s[10:11]
	v_add_u32_e32 v11, 0x100, v0
	v_cmp_lt_u32_e32 vcc, v11, v8
	s_and_saveexec_b64 s[6:7], vcc
	s_cbranch_execz .LBB7_5
; %bb.2:
	v_add_co_u32_e32 v5, vcc, 0x200, v7
	v_addc_co_u32_e64 v6, s[0:1], 0, 0, vcc
	v_mov_b32_e32 v4, s9
	v_add_co_u32_e32 v3, vcc, s8, v5
	v_addc_co_u32_e32 v4, vcc, v4, v6, vcc
	v_mov_b32_e32 v12, s11
	v_add_co_u32_e32 v5, vcc, s10, v5
	v_addc_co_u32_e32 v6, vcc, v12, v6, vcc
	s_mov_b64 s[8:9], 0
	s_movk_i32 s10, 0xeff
.LBB7_3:                                ; =>This Inner Loop Header: Depth=1
	global_load_ushort v12, v[3:4], off
	global_load_ushort v13, v[5:6], off
	v_add_u32_e32 v14, 0x100, v11
	v_cmp_lt_u32_e64 s[0:1], s10, v11
	v_add_co_u32_e32 v3, vcc, 0x200, v3
	v_cmp_ge_u32_e64 s[2:3], v14, v8
	v_addc_co_u32_e32 v4, vcc, 0, v4, vcc
	s_or_b64 s[0:1], s[0:1], s[2:3]
	v_add_co_u32_e32 v5, vcc, 0x200, v5
	s_and_b64 s[0:1], exec, s[0:1]
	v_mov_b32_e32 v11, v14
	v_addc_co_u32_e32 v6, vcc, 0, v6, vcc
	s_or_b64 s[8:9], s[0:1], s[8:9]
	s_waitcnt vmcnt(1)
	v_min_i16_e32 v9, v12, v9
	s_waitcnt vmcnt(0)
	v_max_i16_e32 v10, v13, v10
	s_andn2_b64 exec, exec, s[8:9]
	s_cbranch_execnz .LBB7_3
; %bb.4:
	s_or_b64 exec, exec, s[8:9]
.LBB7_5:
	s_or_b64 exec, exec, s[6:7]
	s_waitcnt vmcnt(1)
	ds_write_b16 v7, v9 offset:512
	s_waitcnt vmcnt(0)
	ds_write_b16 v7, v10
.LBB7_6:
	s_or_b64 exec, exec, s[4:5]
	s_movk_i32 s0, 0x7f
	v_min_u32_e32 v5, 0x100, v8
	v_cmp_lt_u32_e32 vcc, s0, v0
	v_add_u32_e32 v3, 0xffffff00, v7
	s_waitcnt lgkmcnt(0)
	s_barrier
	s_and_saveexec_b64 s[0:1], vcc
	s_xor_b64 s[2:3], exec, s[0:1]
	s_cbranch_execz .LBB7_10
; %bb.7:
	v_cmp_lt_u32_e64 s[0:1], v0, v5
	s_and_saveexec_b64 s[4:5], s[0:1]
	s_cbranch_execz .LBB7_9
; %bb.8:
	ds_read_u16 v4, v3
	ds_read_u16 v6, v7
	s_waitcnt lgkmcnt(0)
	v_max_i16_e32 v4, v4, v6
	ds_write_b16 v3, v4
.LBB7_9:
	s_or_b64 exec, exec, s[4:5]
.LBB7_10:
	s_or_saveexec_b64 s[2:3], s[2:3]
	v_add_u32_e32 v4, 0x200, v7
	s_xor_b64 exec, exec, s[2:3]
	s_cbranch_execz .LBB7_14
; %bb.11:
	v_or_b32_e32 v6, 0x80, v0
	v_cmp_lt_u32_e64 s[0:1], v6, v5
	s_and_saveexec_b64 s[4:5], s[0:1]
	s_cbranch_execz .LBB7_13
; %bb.12:
	ds_read_u16 v6, v4
	ds_read_u16 v8, v4 offset:256
	s_waitcnt lgkmcnt(0)
	v_min_i16_e32 v6, v6, v8
	ds_write_b16 v4, v6
.LBB7_13:
	s_or_b64 exec, exec, s[4:5]
.LBB7_14:
	s_or_b64 exec, exec, s[2:3]
	s_waitcnt lgkmcnt(0)
	s_barrier
	s_and_saveexec_b64 s[0:1], vcc
	s_xor_b64 s[2:3], exec, s[0:1]
	s_cbranch_execz .LBB7_19
; %bb.15:
	s_movk_i32 s0, 0xc0
	v_cmp_gt_u32_e64 s[0:1], s0, v0
	s_and_saveexec_b64 s[4:5], s[0:1]
	s_cbranch_execz .LBB7_18
; %bb.16:
	v_subrev_u32_e32 v6, 64, v0
	v_cmp_lt_u32_e64 s[0:1], v6, v5
	s_and_b64 exec, exec, s[0:1]
	s_cbranch_execz .LBB7_18
; %bb.17:
	v_add_u32_e32 v6, 0xffffff80, v7
	ds_read_u16 v8, v3
	ds_read_u16 v6, v6
	s_waitcnt lgkmcnt(0)
	v_max_i16_e32 v6, v8, v6
	ds_write_b16 v3, v6
.LBB7_18:
	s_or_b64 exec, exec, s[4:5]
.LBB7_19:
	s_andn2_saveexec_b64 s[2:3], s[2:3]
	s_cbranch_execz .LBB7_24
; %bb.20:
	v_cmp_gt_u32_e64 s[0:1], 64, v0
	s_and_saveexec_b64 s[4:5], s[0:1]
	s_cbranch_execz .LBB7_23
; %bb.21:
	v_or_b32_e32 v6, 64, v0
	v_cmp_lt_u32_e64 s[0:1], v6, v5
	s_and_b64 exec, exec, s[0:1]
	s_cbranch_execz .LBB7_23
; %bb.22:
	ds_read_u16 v6, v4
	ds_read_u16 v8, v4 offset:128
	s_waitcnt lgkmcnt(0)
	v_min_i16_e32 v6, v6, v8
	ds_write_b16 v4, v6
.LBB7_23:
	s_or_b64 exec, exec, s[4:5]
.LBB7_24:
	s_or_b64 exec, exec, s[2:3]
	s_waitcnt lgkmcnt(0)
	s_barrier
	s_and_saveexec_b64 s[0:1], vcc
	s_xor_b64 s[2:3], exec, s[0:1]
	s_cbranch_execz .LBB7_29
; %bb.25:
	s_movk_i32 s0, 0xa0
	v_cmp_gt_u32_e64 s[0:1], s0, v0
	s_and_saveexec_b64 s[4:5], s[0:1]
	s_cbranch_execz .LBB7_28
; %bb.26:
	v_add_u32_e32 v6, 0xffffffa0, v0
	v_cmp_lt_u32_e64 s[0:1], v6, v5
	s_and_b64 exec, exec, s[0:1]
	s_cbranch_execz .LBB7_28
; %bb.27:
	v_add_u32_e32 v6, 0xffffff40, v7
	ds_read_u16 v8, v3
	ds_read_u16 v6, v6
	s_waitcnt lgkmcnt(0)
	v_max_i16_e32 v6, v8, v6
	ds_write_b16 v3, v6
.LBB7_28:
	s_or_b64 exec, exec, s[4:5]
.LBB7_29:
	s_andn2_saveexec_b64 s[2:3], s[2:3]
	s_cbranch_execz .LBB7_34
; %bb.30:
	v_cmp_gt_u32_e64 s[0:1], 32, v0
	s_and_saveexec_b64 s[4:5], s[0:1]
	s_cbranch_execz .LBB7_33
; %bb.31:
	v_or_b32_e32 v6, 32, v0
	v_cmp_lt_u32_e64 s[0:1], v6, v5
	s_and_b64 exec, exec, s[0:1]
	s_cbranch_execz .LBB7_33
; %bb.32:
	ds_read_u16 v6, v4
	ds_read_u16 v8, v4 offset:64
	s_waitcnt lgkmcnt(0)
	v_min_i16_e32 v6, v6, v8
	ds_write_b16 v4, v6
.LBB7_33:
	s_or_b64 exec, exec, s[4:5]
.LBB7_34:
	s_or_b64 exec, exec, s[2:3]
	s_waitcnt lgkmcnt(0)
	s_barrier
	s_and_saveexec_b64 s[0:1], vcc
	s_xor_b64 s[2:3], exec, s[0:1]
	s_cbranch_execz .LBB7_39
; %bb.35:
	s_movk_i32 s0, 0x90
	v_cmp_gt_u32_e64 s[0:1], s0, v0
	s_and_saveexec_b64 s[4:5], s[0:1]
	s_cbranch_execz .LBB7_38
; %bb.36:
	v_add_u32_e32 v6, 0xffffff90, v0
	v_cmp_lt_u32_e64 s[0:1], v6, v5
	s_and_b64 exec, exec, s[0:1]
	s_cbranch_execz .LBB7_38
; %bb.37:
	v_add_u32_e32 v6, 0xffffff20, v7
	ds_read_u16 v8, v3
	ds_read_u16 v6, v6
	s_waitcnt lgkmcnt(0)
	v_max_i16_e32 v6, v8, v6
	ds_write_b16 v3, v6
.LBB7_38:
	s_or_b64 exec, exec, s[4:5]
.LBB7_39:
	;; [unrolled: 46-line block ×4, first 2 shown]
	s_andn2_saveexec_b64 s[2:3], s[2:3]
	s_cbranch_execz .LBB7_64
; %bb.60:
	v_cmp_gt_u32_e64 s[0:1], 4, v0
	s_and_saveexec_b64 s[4:5], s[0:1]
	s_cbranch_execz .LBB7_63
; %bb.61:
	v_or_b32_e32 v6, 4, v0
	v_cmp_lt_u32_e64 s[0:1], v6, v5
	s_and_b64 exec, exec, s[0:1]
	s_cbranch_execz .LBB7_63
; %bb.62:
	ds_read_u16 v6, v4
	ds_read_u16 v8, v4 offset:8
	s_waitcnt lgkmcnt(0)
	v_min_i16_e32 v6, v6, v8
	ds_write_b16 v4, v6
.LBB7_63:
	s_or_b64 exec, exec, s[4:5]
.LBB7_64:
	s_or_b64 exec, exec, s[2:3]
	s_waitcnt lgkmcnt(0)
	s_barrier
	s_and_saveexec_b64 s[0:1], vcc
	s_xor_b64 s[2:3], exec, s[0:1]
	s_cbranch_execz .LBB7_69
; %bb.65:
	s_movk_i32 s0, 0x82
	v_cmp_gt_u32_e64 s[0:1], s0, v0
	s_and_saveexec_b64 s[4:5], s[0:1]
	s_cbranch_execz .LBB7_68
; %bb.66:
	v_add_u32_e32 v6, 0xffffff82, v0
	v_cmp_lt_u32_e64 s[0:1], v6, v5
	s_and_b64 exec, exec, s[0:1]
	s_cbranch_execz .LBB7_68
; %bb.67:
	v_add_u32_e32 v5, 0xffffff04, v7
	ds_read_u16 v6, v3
	ds_read_u16 v5, v5
	s_waitcnt lgkmcnt(0)
	v_max_i16_e32 v5, v6, v5
	ds_write_b16 v3, v5
.LBB7_68:
	s_or_b64 exec, exec, s[4:5]
                                        ; implicit-def: $vgpr5
.LBB7_69:
	s_andn2_saveexec_b64 s[2:3], s[2:3]
	s_cbranch_execz .LBB7_74
; %bb.70:
	v_cmp_gt_u32_e64 s[0:1], 2, v0
	s_and_saveexec_b64 s[4:5], s[0:1]
	s_cbranch_execz .LBB7_73
; %bb.71:
	v_or_b32_e32 v6, 2, v0
	v_cmp_lt_u32_e64 s[0:1], v6, v5
	s_and_b64 exec, exec, s[0:1]
	s_cbranch_execz .LBB7_73
; %bb.72:
	ds_read_u16 v5, v4
	ds_read_u16 v6, v4 offset:4
	s_waitcnt lgkmcnt(0)
	v_min_i16_e32 v5, v5, v6
	ds_write_b16 v4, v5
.LBB7_73:
	s_or_b64 exec, exec, s[4:5]
.LBB7_74:
	s_or_b64 exec, exec, s[2:3]
	v_cmp_lt_u64_e64 s[0:1], 1, v[1:2]
	s_waitcnt lgkmcnt(0)
	s_barrier
	s_and_saveexec_b64 s[2:3], vcc
	s_xor_b64 s[2:3], exec, s[2:3]
	s_cbranch_execz .LBB7_78
; %bb.75:
	s_movk_i32 s4, 0x80
	v_cmp_eq_u32_e32 vcc, s4, v0
	s_and_b64 s[6:7], vcc, s[0:1]
	s_and_saveexec_b64 s[4:5], s[6:7]
	s_cbranch_execz .LBB7_77
; %bb.76:
	v_mov_b32_e32 v1, 0
	ds_read_u16 v2, v3
	ds_read_u16 v1, v1 offset:2
	s_waitcnt lgkmcnt(0)
	v_max_i16_e32 v1, v2, v1
	ds_write_b16 v3, v1
.LBB7_77:
	s_or_b64 exec, exec, s[4:5]
                                        ; implicit-def: $vgpr4
.LBB7_78:
	s_andn2_saveexec_b64 s[2:3], s[2:3]
	s_cbranch_execz .LBB7_82
; %bb.79:
	v_cmp_eq_u32_e32 vcc, 0, v0
	s_and_b64 s[4:5], vcc, s[0:1]
	s_and_saveexec_b64 s[0:1], s[4:5]
	s_cbranch_execz .LBB7_81
; %bb.80:
	v_mov_b32_e32 v1, 0
	ds_read_u16 v2, v4
	ds_read_u16 v1, v1 offset:514
	s_waitcnt lgkmcnt(0)
	v_min_i16_e32 v1, v2, v1
	ds_write_b16 v4, v1
.LBB7_81:
	s_or_b64 exec, exec, s[0:1]
.LBB7_82:
	s_or_b64 exec, exec, s[2:3]
	v_cmp_eq_u32_e32 vcc, 0, v0
	s_waitcnt lgkmcnt(0)
	s_barrier
	s_and_saveexec_b64 s[0:1], vcc
	s_cbranch_execz .LBB7_84
; %bb.83:
	v_mov_b32_e32 v0, 0
	ds_read_u16 v1, v0 offset:512
	ds_read_i16 v2, v0
	s_waitcnt lgkmcnt(1)
	global_store_short v0, v1, s[14:15]
	s_waitcnt lgkmcnt(0)
	v_sub_u32_sdwa v1, v2, sext(v1) dst_sel:DWORD dst_unused:UNUSED_PAD src0_sel:DWORD src1_sel:WORD_0
	v_ffbh_u32_e32 v1, v1
	v_min_u32_e32 v1, 0xffff, v1
	v_sub_u16_e64 v1, 32, v1 clamp
	global_store_byte v0, v1, s[12:13]
.LBB7_84:
	s_endpgm
	.section	.rodata,"a",@progbits
	.p2align	6, 0x0
	.amdhsa_kernel _Z27bitPackConfigFinalizeKernelIssEvPKT_S2_PhPT0_PKm
		.amdhsa_group_segment_fixed_size 1024
		.amdhsa_private_segment_fixed_size 0
		.amdhsa_kernarg_size 40
		.amdhsa_user_sgpr_count 6
		.amdhsa_user_sgpr_private_segment_buffer 1
		.amdhsa_user_sgpr_dispatch_ptr 0
		.amdhsa_user_sgpr_queue_ptr 0
		.amdhsa_user_sgpr_kernarg_segment_ptr 1
		.amdhsa_user_sgpr_dispatch_id 0
		.amdhsa_user_sgpr_flat_scratch_init 0
		.amdhsa_user_sgpr_private_segment_size 0
		.amdhsa_uses_dynamic_stack 0
		.amdhsa_system_sgpr_private_segment_wavefront_offset 0
		.amdhsa_system_sgpr_workgroup_id_x 1
		.amdhsa_system_sgpr_workgroup_id_y 0
		.amdhsa_system_sgpr_workgroup_id_z 0
		.amdhsa_system_sgpr_workgroup_info 0
		.amdhsa_system_vgpr_workitem_id 0
		.amdhsa_next_free_vgpr 15
		.amdhsa_next_free_sgpr 16
		.amdhsa_reserve_vcc 1
		.amdhsa_reserve_flat_scratch 0
		.amdhsa_float_round_mode_32 0
		.amdhsa_float_round_mode_16_64 0
		.amdhsa_float_denorm_mode_32 3
		.amdhsa_float_denorm_mode_16_64 3
		.amdhsa_dx10_clamp 1
		.amdhsa_ieee_mode 1
		.amdhsa_fp16_overflow 0
		.amdhsa_exception_fp_ieee_invalid_op 0
		.amdhsa_exception_fp_denorm_src 0
		.amdhsa_exception_fp_ieee_div_zero 0
		.amdhsa_exception_fp_ieee_overflow 0
		.amdhsa_exception_fp_ieee_underflow 0
		.amdhsa_exception_fp_ieee_inexact 0
		.amdhsa_exception_int_div_zero 0
	.end_amdhsa_kernel
	.section	.text._Z27bitPackConfigFinalizeKernelIssEvPKT_S2_PhPT0_PKm,"axG",@progbits,_Z27bitPackConfigFinalizeKernelIssEvPKT_S2_PhPT0_PKm,comdat
.Lfunc_end7:
	.size	_Z27bitPackConfigFinalizeKernelIssEvPKT_S2_PhPT0_PKm, .Lfunc_end7-_Z27bitPackConfigFinalizeKernelIssEvPKT_S2_PhPT0_PKm
                                        ; -- End function
	.set _Z27bitPackConfigFinalizeKernelIssEvPKT_S2_PhPT0_PKm.num_vgpr, 15
	.set _Z27bitPackConfigFinalizeKernelIssEvPKT_S2_PhPT0_PKm.num_agpr, 0
	.set _Z27bitPackConfigFinalizeKernelIssEvPKT_S2_PhPT0_PKm.numbered_sgpr, 16
	.set _Z27bitPackConfigFinalizeKernelIssEvPKT_S2_PhPT0_PKm.num_named_barrier, 0
	.set _Z27bitPackConfigFinalizeKernelIssEvPKT_S2_PhPT0_PKm.private_seg_size, 0
	.set _Z27bitPackConfigFinalizeKernelIssEvPKT_S2_PhPT0_PKm.uses_vcc, 1
	.set _Z27bitPackConfigFinalizeKernelIssEvPKT_S2_PhPT0_PKm.uses_flat_scratch, 0
	.set _Z27bitPackConfigFinalizeKernelIssEvPKT_S2_PhPT0_PKm.has_dyn_sized_stack, 0
	.set _Z27bitPackConfigFinalizeKernelIssEvPKT_S2_PhPT0_PKm.has_recursion, 0
	.set _Z27bitPackConfigFinalizeKernelIssEvPKT_S2_PhPT0_PKm.has_indirect_call, 0
	.section	.AMDGPU.csdata,"",@progbits
; Kernel info:
; codeLenInByte = 1920
; TotalNumSgprs: 20
; NumVgprs: 15
; ScratchSize: 0
; MemoryBound: 0
; FloatMode: 240
; IeeeMode: 1
; LDSByteSize: 1024 bytes/workgroup (compile time only)
; SGPRBlocks: 2
; VGPRBlocks: 3
; NumSGPRsForWavesPerEU: 20
; NumVGPRsForWavesPerEU: 15
; Occupancy: 10
; WaveLimiterHint : 0
; COMPUTE_PGM_RSRC2:SCRATCH_EN: 0
; COMPUTE_PGM_RSRC2:USER_SGPR: 6
; COMPUTE_PGM_RSRC2:TRAP_HANDLER: 0
; COMPUTE_PGM_RSRC2:TGID_X_EN: 1
; COMPUTE_PGM_RSRC2:TGID_Y_EN: 0
; COMPUTE_PGM_RSRC2:TGID_Z_EN: 0
; COMPUTE_PGM_RSRC2:TIDIG_COMP_CNT: 0
	.section	.text._Z13bitPackKernelIsjEvPKhPKT_PT0_S4_PKm,"axG",@progbits,_Z13bitPackKernelIsjEvPKhPKT_PT0_S4_PKm,comdat
	.protected	_Z13bitPackKernelIsjEvPKhPKT_PT0_S4_PKm ; -- Begin function _Z13bitPackKernelIsjEvPKhPKT_PT0_S4_PKm
	.globl	_Z13bitPackKernelIsjEvPKhPKT_PT0_S4_PKm
	.p2align	8
	.type	_Z13bitPackKernelIsjEvPKhPKT_PT0_S4_PKm,@function
_Z13bitPackKernelIsjEvPKhPKT_PT0_S4_PKm: ; @_Z13bitPackKernelIsjEvPKhPKT_PT0_S4_PKm
; %bb.0:
	s_load_dwordx2 s[0:1], s[4:5], 0x20
	s_mov_b32 s16, 0
	s_mov_b32 s9, s16
	s_waitcnt lgkmcnt(0)
	s_load_dwordx2 s[2:3], s[0:1], 0x0
	s_waitcnt lgkmcnt(0)
	s_lshr_b64 s[0:1], s[2:3], 8
	s_and_b32 s8, s2, 0xff
	s_cmp_lg_u64 s[8:9], 0
	s_cselect_b64 s[8:9], -1, 0
	s_cmp_lg_u64 s[8:9], 0
	s_addc_u32 s7, s0, 0
	s_cmp_ge_i32 s6, s7
	s_cbranch_scc1 .LBB8_32
; %bb.1:
	s_load_dwordx8 s[8:15], s[4:5], 0x0
	v_mov_b32_e32 v1, 0
	v_mov_b32_e32 v4, 0x4f800000
	;; [unrolled: 1-line block ×3, first 2 shown]
	s_waitcnt lgkmcnt(0)
	global_load_ubyte v2, v1, s[8:9]
	global_load_ushort v11, v1, s[10:11]
	s_load_dword s21, s[4:5], 0x28
	s_bfe_i64 s[4:5], s[2:3], 0x200000
	s_waitcnt vmcnt(1)
	v_readfirstlane_b32 s20, v2
	v_cvt_f32_u32_e32 v2, s20
	v_cvt_f32_u32_e32 v3, s20
	s_sub_i32 s22, 0, s20
	v_rcp_iflag_f32_e32 v2, v2
	v_mac_f32_e32 v3, 0, v4
	v_rcp_f32_e32 v3, v3
	v_mul_f32_e32 v2, 0x4f7ffffe, v2
	v_cvt_u32_f32_e32 v12, v2
	v_mul_f32_e32 v2, 0x5f7ffffc, v3
	v_mul_f32_e32 v4, 0x2f800000, v2
	v_trunc_f32_e32 v4, v4
	v_mul_lo_u32 v3, s22, v12
	v_mac_f32_e32 v2, 0xcf800000, v4
	v_cvt_u32_f32_e32 v13, v4
	v_cvt_u32_f32_e32 v14, v2
	v_mul_hi_u32 v3, v12, v3
	v_add_u32_e32 v15, v12, v3
	s_branch .LBB8_3
.LBB8_2:                                ;   in Loop: Header=BB8_3 Depth=1
	s_or_b64 exec, exec, s[0:1]
	s_waitcnt lgkmcnt(0)
	s_add_i32 s6, s21, s6
	s_cmp_ge_i32 s6, s7
	s_cbranch_scc1 .LBB8_32
.LBB8_3:                                ; =>This Loop Header: Depth=1
                                        ;     Child Loop BB8_19 Depth 2
                                        ;       Child Loop BB8_23 Depth 3
	s_lshl_b32 s8, s6, 8
	v_add_u32_e32 v3, s8, v0
	v_ashrrev_i32_e32 v4, 31, v3
	v_lshlrev_b64 v[5:6], 5, v[3:4]
                                        ; implicit-def: $vgpr7_vgpr8
	v_mov_b32_e32 v2, v6
	v_cmp_ne_u64_e32 vcc, 0, v[1:2]
	s_and_saveexec_b64 s[0:1], vcc
	s_xor_b64 s[10:11], exec, s[0:1]
	s_cbranch_execz .LBB8_5
; %bb.4:                                ;   in Loop: Header=BB8_3 Depth=1
	s_sub_u32 s9, 0, s20
	v_readfirstlane_b32 s0, v14
	v_readfirstlane_b32 s19, v13
	s_subb_u32 s17, 0, 0
	s_mul_hi_u32 s18, s9, s0
	s_mul_i32 s23, s9, s19
	s_mul_i32 s1, s17, s0
	s_add_i32 s18, s18, s23
	s_add_i32 s18, s18, s1
	s_mul_i32 s24, s9, s0
	s_mul_i32 s23, s0, s18
	s_mul_hi_u32 s25, s0, s24
	s_mul_hi_u32 s1, s0, s18
	s_add_u32 s23, s25, s23
	s_addc_u32 s1, 0, s1
	s_mul_hi_u32 s26, s19, s24
	s_mul_i32 s24, s19, s24
	s_add_u32 s23, s23, s24
	s_mul_hi_u32 s25, s19, s18
	s_addc_u32 s1, s1, s26
	s_addc_u32 s23, s25, 0
	s_mul_i32 s18, s19, s18
	s_add_u32 s1, s1, s18
	s_addc_u32 s18, 0, s23
	s_add_u32 s23, s0, s1
	s_cselect_b64 s[0:1], -1, 0
	s_cmp_lg_u64 s[0:1], 0
	s_addc_u32 s18, s19, s18
	s_mul_i32 s0, s9, s18
	s_mul_hi_u32 s1, s9, s23
	s_add_i32 s0, s1, s0
	s_mul_i32 s17, s17, s23
	s_add_i32 s0, s0, s17
	s_mul_i32 s9, s9, s23
	s_mul_hi_u32 s17, s18, s9
	s_mul_i32 s19, s18, s9
	s_mul_i32 s25, s23, s0
	s_mul_hi_u32 s9, s23, s9
	s_mul_hi_u32 s24, s23, s0
	s_add_u32 s9, s9, s25
	s_addc_u32 s24, 0, s24
	s_add_u32 s9, s9, s19
	s_mul_hi_u32 s1, s18, s0
	s_addc_u32 s9, s24, s17
	s_addc_u32 s1, s1, 0
	s_mul_i32 s0, s18, s0
	s_add_u32 s0, s9, s0
	s_addc_u32 s9, 0, s1
	s_add_u32 s17, s23, s0
	s_cselect_b64 s[0:1], -1, 0
	s_cmp_lg_u64 s[0:1], 0
	s_addc_u32 s9, s18, s9
	v_mad_u64_u32 v[7:8], s[0:1], v5, s9, 0
	v_mul_hi_u32 v2, v5, s17
	v_mad_u64_u32 v[9:10], s[0:1], v6, s9, 0
	v_add_co_u32_e32 v2, vcc, v2, v7
	v_addc_co_u32_e32 v17, vcc, 0, v8, vcc
	v_mad_u64_u32 v[7:8], s[0:1], v6, s17, 0
	v_add_co_u32_e32 v2, vcc, v2, v7
	v_addc_co_u32_e32 v2, vcc, v17, v8, vcc
	v_addc_co_u32_e32 v7, vcc, 0, v10, vcc
	v_add_co_u32_e32 v10, vcc, v2, v9
	v_addc_co_u32_e32 v17, vcc, 0, v7, vcc
	v_mad_u64_u32 v[7:8], s[0:1], s20, v10, 0
	v_mov_b32_e32 v2, v8
	v_mad_u64_u32 v[8:9], s[0:1], s20, v17, v[2:3]
	v_sub_co_u32_e32 v2, vcc, v5, v7
	v_subb_co_u32_e32 v7, vcc, v6, v8, vcc
	v_subrev_co_u32_e32 v8, vcc, s20, v2
	v_subbrev_co_u32_e32 v9, vcc, 0, v7, vcc
	v_cmp_le_u32_e32 vcc, s20, v8
	v_cndmask_b32_e64 v8, 0, -1, vcc
	v_cmp_eq_u32_e32 vcc, 0, v9
	v_cndmask_b32_e32 v8, -1, v8, vcc
	v_add_co_u32_e32 v9, vcc, 2, v10
	v_addc_co_u32_e32 v18, vcc, 0, v17, vcc
	v_add_co_u32_e32 v19, vcc, 1, v10
	v_cmp_le_u32_e64 s[0:1], s20, v2
	v_addc_co_u32_e32 v20, vcc, 0, v17, vcc
	v_cndmask_b32_e64 v2, 0, -1, s[0:1]
	v_cmp_eq_u32_e64 s[0:1], 0, v7
	v_cmp_ne_u32_e32 vcc, 0, v8
	v_cndmask_b32_e64 v2, -1, v2, s[0:1]
	v_cndmask_b32_e32 v8, v20, v18, vcc
	v_cmp_ne_u32_e64 s[0:1], 0, v2
	v_cndmask_b32_e32 v2, v19, v9, vcc
	v_cndmask_b32_e64 v8, v17, v8, s[0:1]
	v_cndmask_b32_e64 v7, v10, v2, s[0:1]
.LBB8_5:                                ;   in Loop: Header=BB8_3 Depth=1
	s_andn2_saveexec_b64 s[0:1], s[10:11]
	s_cbranch_execz .LBB8_7
; %bb.6:                                ;   in Loop: Header=BB8_3 Depth=1
	v_mul_hi_u32 v2, v5, v15
	v_mul_lo_u32 v7, v2, s20
	v_add_u32_e32 v8, 1, v2
	v_sub_u32_e32 v7, v5, v7
	v_subrev_u32_e32 v9, s20, v7
	v_cmp_le_u32_e32 vcc, s20, v7
	v_cndmask_b32_e32 v7, v7, v9, vcc
	v_cndmask_b32_e32 v2, v2, v8, vcc
	v_add_u32_e32 v8, 1, v2
	v_cmp_le_u32_e32 vcc, s20, v7
	v_cndmask_b32_e32 v7, v2, v8, vcc
	v_mov_b32_e32 v8, v1
.LBB8_7:                                ;   in Loop: Header=BB8_3 Depth=1
	s_or_b64 exec, exec, s[0:1]
	v_add_co_u32_e32 v17, vcc, 32, v5
	v_addc_co_u32_e32 v2, vcc, 0, v6, vcc
	v_cmp_ne_u64_e32 vcc, 0, v[1:2]
                                        ; implicit-def: $vgpr9_vgpr10
	s_and_saveexec_b64 s[0:1], vcc
	s_xor_b64 s[10:11], exec, s[0:1]
	s_cbranch_execz .LBB8_9
; %bb.8:                                ;   in Loop: Header=BB8_3 Depth=1
	s_sub_u32 s9, 0, s20
	v_readfirstlane_b32 s0, v14
	v_readfirstlane_b32 s19, v13
	s_subb_u32 s17, 0, 0
	s_mul_hi_u32 s18, s9, s0
	s_mul_i32 s23, s9, s19
	s_mul_i32 s1, s17, s0
	s_add_i32 s18, s18, s23
	s_add_i32 s18, s18, s1
	s_mul_i32 s24, s9, s0
	s_mul_i32 s23, s0, s18
	s_mul_hi_u32 s25, s0, s24
	s_mul_hi_u32 s1, s0, s18
	s_add_u32 s23, s25, s23
	s_addc_u32 s1, 0, s1
	s_mul_hi_u32 s26, s19, s24
	s_mul_i32 s24, s19, s24
	s_add_u32 s23, s23, s24
	s_mul_hi_u32 s25, s19, s18
	s_addc_u32 s1, s1, s26
	s_addc_u32 s23, s25, 0
	s_mul_i32 s18, s19, s18
	s_add_u32 s1, s1, s18
	s_addc_u32 s18, 0, s23
	s_add_u32 s23, s0, s1
	s_cselect_b64 s[0:1], -1, 0
	s_cmp_lg_u64 s[0:1], 0
	s_addc_u32 s18, s19, s18
	s_mul_i32 s0, s9, s18
	s_mul_hi_u32 s1, s9, s23
	s_add_i32 s0, s1, s0
	s_mul_i32 s17, s17, s23
	s_add_i32 s0, s0, s17
	s_mul_i32 s9, s9, s23
	s_mul_hi_u32 s17, s18, s9
	s_mul_i32 s19, s18, s9
	s_mul_i32 s25, s23, s0
	s_mul_hi_u32 s9, s23, s9
	s_mul_hi_u32 s24, s23, s0
	s_add_u32 s9, s9, s25
	s_addc_u32 s24, 0, s24
	s_add_u32 s9, s9, s19
	s_mul_hi_u32 s1, s18, s0
	s_addc_u32 s9, s24, s17
	s_addc_u32 s1, s1, 0
	s_mul_i32 s0, s18, s0
	s_add_u32 s0, s9, s0
	s_addc_u32 s9, 0, s1
	s_add_u32 s17, s23, s0
	s_cselect_b64 s[0:1], -1, 0
	s_cmp_lg_u64 s[0:1], 0
	s_addc_u32 s9, s18, s9
	v_mad_u64_u32 v[9:10], s[0:1], v17, s9, 0
	v_mul_hi_u32 v6, v17, s17
	v_mad_u64_u32 v[18:19], s[0:1], v2, s9, 0
	v_add_co_u32_e32 v6, vcc, v6, v9
	v_addc_co_u32_e32 v20, vcc, 0, v10, vcc
	v_mad_u64_u32 v[9:10], s[0:1], v2, s17, 0
	v_add_co_u32_e32 v6, vcc, v6, v9
	v_addc_co_u32_e32 v6, vcc, v20, v10, vcc
	v_addc_co_u32_e32 v9, vcc, 0, v19, vcc
	v_add_co_u32_e32 v20, vcc, v6, v18
	v_addc_co_u32_e32 v21, vcc, 0, v9, vcc
	v_mad_u64_u32 v[9:10], s[0:1], s20, v20, 0
	v_mov_b32_e32 v6, v10
	v_mad_u64_u32 v[18:19], s[0:1], s20, v21, v[6:7]
	v_sub_co_u32_e32 v6, vcc, v17, v9
	v_subb_co_u32_e32 v9, vcc, v2, v18, vcc
	v_subrev_co_u32_e32 v10, vcc, s20, v6
	v_subbrev_co_u32_e32 v18, vcc, 0, v9, vcc
	v_cmp_le_u32_e32 vcc, s20, v10
	v_cndmask_b32_e64 v10, 0, -1, vcc
	v_cmp_eq_u32_e32 vcc, 0, v18
	v_cndmask_b32_e32 v10, -1, v10, vcc
	v_add_co_u32_e32 v18, vcc, 2, v20
	v_addc_co_u32_e32 v19, vcc, 0, v21, vcc
	v_add_co_u32_e32 v22, vcc, 1, v20
	v_cmp_le_u32_e64 s[0:1], s20, v6
	v_addc_co_u32_e32 v23, vcc, 0, v21, vcc
	v_cndmask_b32_e64 v6, 0, -1, s[0:1]
	v_cmp_eq_u32_e64 s[0:1], 0, v9
	v_cmp_ne_u32_e32 vcc, 0, v10
	v_cndmask_b32_e64 v6, -1, v6, s[0:1]
	v_cndmask_b32_e32 v10, v23, v19, vcc
	v_cmp_ne_u32_e64 s[0:1], 0, v6
	v_cndmask_b32_e32 v6, v22, v18, vcc
	v_cndmask_b32_e64 v10, v21, v10, s[0:1]
	v_cndmask_b32_e64 v9, v20, v6, s[0:1]
.LBB8_9:                                ;   in Loop: Header=BB8_3 Depth=1
	s_andn2_saveexec_b64 s[0:1], s[10:11]
	s_cbranch_execz .LBB8_11
; %bb.10:                               ;   in Loop: Header=BB8_3 Depth=1
	v_mul_hi_u32 v6, v17, v15
	v_mul_lo_u32 v9, v6, s20
	v_add_u32_e32 v10, 1, v6
	v_sub_u32_e32 v9, v17, v9
	v_subrev_u32_e32 v18, s20, v9
	v_cmp_le_u32_e32 vcc, s20, v9
	v_cndmask_b32_e32 v9, v9, v18, vcc
	v_cndmask_b32_e32 v6, v6, v10, vcc
	v_add_u32_e32 v10, 1, v6
	v_cmp_le_u32_e32 vcc, s20, v9
	v_cndmask_b32_e32 v9, v6, v10, vcc
	v_mov_b32_e32 v10, v1
.LBB8_11:                               ;   in Loop: Header=BB8_3 Depth=1
	s_or_b64 exec, exec, s[0:1]
	s_ashr_i32 s9, s8, 31
	s_lshl_b64 s[10:11], s[8:9], 5
	s_mov_b32 s17, s11
	s_cmp_lg_u64 s[16:17], 0
	s_cbranch_scc0 .LBB8_30
; %bb.12:                               ;   in Loop: Header=BB8_3 Depth=1
	s_sub_u32 s9, 0, s20
	v_readfirstlane_b32 s0, v14
	v_readfirstlane_b32 s19, v13
	s_subb_u32 s17, 0, 0
	s_mul_hi_u32 s18, s9, s0
	s_mul_i32 s23, s9, s19
	s_mul_i32 s1, s17, s0
	s_add_i32 s18, s18, s23
	s_add_i32 s18, s18, s1
	s_mul_i32 s24, s9, s0
	s_mul_i32 s23, s0, s18
	s_mul_hi_u32 s25, s0, s24
	s_mul_hi_u32 s1, s0, s18
	s_add_u32 s23, s25, s23
	s_addc_u32 s1, 0, s1
	s_mul_hi_u32 s26, s19, s24
	s_mul_i32 s24, s19, s24
	s_add_u32 s23, s23, s24
	s_mul_hi_u32 s25, s19, s18
	s_addc_u32 s1, s1, s26
	s_addc_u32 s23, s25, 0
	s_mul_i32 s18, s19, s18
	s_add_u32 s1, s1, s18
	s_addc_u32 s18, 0, s23
	s_add_u32 s23, s0, s1
	s_cselect_b64 s[0:1], -1, 0
	s_cmp_lg_u64 s[0:1], 0
	s_addc_u32 s18, s19, s18
	s_mul_i32 s0, s9, s18
	s_mul_hi_u32 s1, s9, s23
	s_add_i32 s0, s1, s0
	s_mul_i32 s17, s17, s23
	s_add_i32 s0, s0, s17
	s_mul_i32 s9, s9, s23
	s_mul_hi_u32 s17, s18, s9
	s_mul_i32 s19, s18, s9
	s_mul_i32 s25, s23, s0
	s_mul_hi_u32 s9, s23, s9
	s_mul_hi_u32 s24, s23, s0
	s_add_u32 s9, s9, s25
	s_addc_u32 s24, 0, s24
	s_add_u32 s9, s9, s19
	s_mul_hi_u32 s1, s18, s0
	s_addc_u32 s9, s24, s17
	s_addc_u32 s1, s1, 0
	s_mul_i32 s0, s18, s0
	s_add_u32 s0, s9, s0
	s_addc_u32 s9, 0, s1
	s_add_u32 s17, s23, s0
	s_cselect_b64 s[0:1], -1, 0
	s_cmp_lg_u64 s[0:1], 0
	s_addc_u32 s0, s18, s9
	s_mul_i32 s9, s10, s0
	s_mul_hi_u32 s18, s10, s17
	s_mul_hi_u32 s1, s10, s0
	s_add_u32 s9, s18, s9
	s_addc_u32 s1, 0, s1
	s_mul_hi_u32 s19, s11, s17
	s_mul_i32 s17, s11, s17
	s_add_u32 s9, s9, s17
	s_mul_hi_u32 s18, s11, s0
	s_addc_u32 s1, s1, s19
	s_addc_u32 s9, s18, 0
	s_mul_i32 s0, s11, s0
	s_add_u32 s17, s1, s0
	s_addc_u32 s9, 0, s9
	s_add_u32 s18, s17, 1
	s_addc_u32 s19, s9, 0
	s_add_u32 s23, s17, 2
	s_mul_i32 s0, s20, s9
	s_mul_hi_u32 s1, s20, s17
	s_addc_u32 s24, s9, 0
	s_add_i32 s25, s1, s0
	s_mul_i32 s0, s20, s17
	s_sub_u32 s26, s10, s0
	s_cselect_b64 s[0:1], -1, 0
	s_cmp_lg_u64 s[0:1], 0
	s_subb_u32 s11, s11, s25
	s_sub_u32 s25, s26, s20
	s_cselect_b64 s[0:1], -1, 0
	s_cmp_lg_u64 s[0:1], 0
	s_subb_u32 s0, s11, 0
	s_cmp_ge_u32 s25, s20
	s_cselect_b32 s1, -1, 0
	s_cmp_eq_u32 s0, 0
	s_cselect_b32 s0, s1, -1
	s_cmp_lg_u32 s0, 0
	s_cselect_b32 s0, s23, s18
	s_cselect_b32 s1, s24, s19
	s_cmp_ge_u32 s26, s20
	s_cselect_b32 s18, -1, 0
	s_cmp_eq_u32 s11, 0
	s_cselect_b32 s11, s18, -1
	s_cmp_lg_u32 s11, 0
	s_cselect_b32 s1, s1, s9
	s_cselect_b32 s0, s0, s17
	s_cbranch_execnz .LBB8_14
.LBB8_13:                               ;   in Loop: Header=BB8_3 Depth=1
	v_readfirstlane_b32 s0, v12
	s_mul_i32 s1, s22, s0
	s_mul_hi_u32 s1, s0, s1
	s_add_i32 s0, s0, s1
	s_mul_hi_u32 s0, s10, s0
	s_mul_i32 s9, s0, s20
	s_sub_i32 s9, s10, s9
	s_add_i32 s1, s0, 1
	s_sub_i32 s10, s9, s20
	s_cmp_ge_u32 s9, s20
	s_cselect_b32 s0, s1, s0
	s_cselect_b32 s9, s10, s9
	s_add_i32 s1, s0, 1
	s_cmp_ge_u32 s9, s20
	s_cselect_b32 s0, s1, s0
	s_mov_b32 s1, s16
.LBB8_14:                               ;   in Loop: Header=BB8_3 Depth=1
	s_addk_i32 s8, 0x100
	s_ashr_i32 s9, s8, 31
	s_lshl_b64 s[8:9], s[8:9], 5
	s_mov_b32 s17, s9
	s_cmp_lg_u64 s[16:17], 0
	s_cbranch_scc0 .LBB8_31
; %bb.15:                               ;   in Loop: Header=BB8_3 Depth=1
	s_sub_u32 s17, 0, s20
	v_readfirstlane_b32 s10, v14
	v_readfirstlane_b32 s23, v13
	s_subb_u32 s18, 0, 0
	s_mul_hi_u32 s19, s17, s10
	s_mul_i32 s24, s17, s23
	s_mul_i32 s11, s18, s10
	s_add_i32 s19, s19, s24
	s_add_i32 s19, s19, s11
	s_mul_i32 s25, s17, s10
	s_mul_i32 s24, s10, s19
	s_mul_hi_u32 s26, s10, s25
	s_mul_hi_u32 s11, s10, s19
	s_add_u32 s24, s26, s24
	s_addc_u32 s11, 0, s11
	s_mul_hi_u32 s27, s23, s25
	s_mul_i32 s25, s23, s25
	s_add_u32 s24, s24, s25
	s_mul_hi_u32 s26, s23, s19
	s_addc_u32 s11, s11, s27
	s_addc_u32 s24, s26, 0
	s_mul_i32 s19, s23, s19
	s_add_u32 s11, s11, s19
	s_addc_u32 s19, 0, s24
	s_add_u32 s24, s10, s11
	s_cselect_b64 s[10:11], -1, 0
	s_cmp_lg_u64 s[10:11], 0
	s_addc_u32 s19, s23, s19
	s_mul_i32 s10, s17, s19
	s_mul_hi_u32 s11, s17, s24
	s_add_i32 s10, s11, s10
	s_mul_i32 s18, s18, s24
	s_add_i32 s10, s10, s18
	s_mul_i32 s17, s17, s24
	s_mul_hi_u32 s18, s19, s17
	s_mul_i32 s23, s19, s17
	s_mul_i32 s26, s24, s10
	s_mul_hi_u32 s17, s24, s17
	s_mul_hi_u32 s25, s24, s10
	s_add_u32 s17, s17, s26
	s_addc_u32 s25, 0, s25
	s_add_u32 s17, s17, s23
	s_mul_hi_u32 s11, s19, s10
	s_addc_u32 s17, s25, s18
	s_addc_u32 s11, s11, 0
	s_mul_i32 s10, s19, s10
	s_add_u32 s10, s17, s10
	s_addc_u32 s17, 0, s11
	s_add_u32 s18, s24, s10
	s_cselect_b64 s[10:11], -1, 0
	s_cmp_lg_u64 s[10:11], 0
	s_addc_u32 s10, s19, s17
	s_mul_i32 s17, s8, s10
	s_mul_hi_u32 s19, s8, s18
	s_mul_hi_u32 s11, s8, s10
	s_add_u32 s17, s19, s17
	s_addc_u32 s11, 0, s11
	s_mul_hi_u32 s23, s9, s18
	s_mul_i32 s18, s9, s18
	s_add_u32 s17, s17, s18
	s_mul_hi_u32 s19, s9, s10
	s_addc_u32 s11, s11, s23
	s_addc_u32 s17, s19, 0
	s_mul_i32 s10, s9, s10
	s_add_u32 s18, s11, s10
	s_addc_u32 s17, 0, s17
	s_add_u32 s19, s18, 1
	s_addc_u32 s23, s17, 0
	s_add_u32 s24, s18, 2
	s_mul_i32 s10, s20, s17
	s_mul_hi_u32 s11, s20, s18
	s_addc_u32 s25, s17, 0
	s_add_i32 s26, s11, s10
	s_mul_i32 s10, s20, s18
	s_sub_u32 s27, s8, s10
	s_cselect_b64 s[10:11], -1, 0
	s_cmp_lg_u64 s[10:11], 0
	s_subb_u32 s26, s9, s26
	s_sub_u32 s28, s27, s20
	s_cselect_b64 s[10:11], -1, 0
	s_cmp_lg_u64 s[10:11], 0
	s_subb_u32 s10, s26, 0
	s_cmp_ge_u32 s28, s20
	s_cselect_b32 s11, -1, 0
	s_cmp_eq_u32 s10, 0
	s_cselect_b32 s10, s11, -1
	s_cmp_lg_u32 s10, 0
	s_cselect_b32 s10, s24, s19
	s_cselect_b32 s11, s25, s23
	s_cmp_ge_u32 s27, s20
	s_cselect_b32 s19, -1, 0
	s_cmp_eq_u32 s26, 0
	s_cselect_b32 s19, s19, -1
	s_cmp_lg_u32 s19, 0
	s_cselect_b32 s11, s11, s17
	s_cselect_b32 s10, s10, s18
	s_cbranch_execnz .LBB8_17
.LBB8_16:                               ;   in Loop: Header=BB8_3 Depth=1
	v_readfirstlane_b32 s10, v12
	s_mul_i32 s11, s22, s10
	s_mul_hi_u32 s11, s10, s11
	s_add_i32 s10, s10, s11
	s_mul_hi_u32 s10, s8, s10
	s_mul_i32 s17, s10, s20
	s_sub_i32 s17, s8, s17
	s_add_i32 s11, s10, 1
	s_sub_i32 s18, s17, s20
	s_cmp_ge_u32 s17, s20
	s_cselect_b32 s10, s11, s10
	s_cselect_b32 s17, s18, s17
	s_add_i32 s11, s10, 1
	s_cmp_ge_u32 s17, s20
	s_cselect_b32 s10, s11, s10
	s_mov_b32 s11, s16
.LBB8_17:                               ;   in Loop: Header=BB8_3 Depth=1
	s_and_b32 s17, s0, 0xffffff00
	v_mov_b32_e32 v18, s17
	v_mov_b32_e32 v19, s1
	v_cmp_lt_u64_e32 vcc, s[4:5], v[18:19]
	v_mov_b32_e32 v18, s4
	s_and_b64 s[0:1], vcc, exec
	s_mul_i32 s0, s11, s20
	s_mul_hi_u32 s1, s10, s20
	s_cselect_b32 s17, s4, s17
	s_add_i32 s1, s1, s0
	s_mul_i32 s0, s10, s20
	s_sub_u32 s0, s8, s0
	s_subb_u32 s1, s9, s1
	v_cmp_lt_u64_e32 vcc, s[4:5], v[7:8]
	s_cmp_lg_u64 s[0:1], 0
	s_cselect_b64 s[0:1], -1, 0
	v_cndmask_b32_e32 v6, v7, v18, vcc
	v_cndmask_b32_e64 v7, 0, 1, s[0:1]
	v_mov_b32_e32 v8, s11
	v_add_co_u32_e32 v19, vcc, s10, v7
	v_addc_co_u32_e32 v20, vcc, 0, v8, vcc
	v_and_b32_e32 v7, 0xff, v19
	v_mov_b32_e32 v8, v1
	v_cmp_eq_u64_e32 vcc, 0, v[7:8]
	v_cndmask_b32_e64 v7, v16, 0, vcc
	v_add_co_u32_e32 v7, vcc, v7, v19
	v_addc_co_u32_e32 v8, vcc, 0, v20, vcc
	v_and_b32_e32 v7, 0xffffff00, v7
	v_cmp_lt_u64_e32 vcc, s[4:5], v[7:8]
	v_cndmask_b32_e32 v19, v7, v18, vcc
	v_cmp_ge_i32_e32 vcc, s17, v19
	v_mov_b32_e32 v18, 0
	s_cbranch_vccnz .LBB8_28
; %bb.18:                               ;   in Loop: Header=BB8_3 Depth=1
	v_mad_u64_u32 v[7:8], s[0:1], v9, s20, 0
	v_mov_b32_e32 v18, 0
	v_mad_u64_u32 v[20:21], s[0:1], v10, s20, v[8:9]
	v_sub_co_u32_e32 v7, vcc, v17, v7
	v_subb_co_u32_e32 v8, vcc, v2, v20, vcc
	v_cmp_ne_u64_e32 vcc, 0, v[7:8]
	v_cndmask_b32_e64 v2, 0, 1, vcc
	v_add_co_u32_e32 v7, vcc, v9, v2
	v_addc_co_u32_e32 v8, vcc, 0, v10, vcc
	v_cmp_lt_u64_e32 vcc, s[4:5], v[7:8]
	v_mov_b32_e32 v2, s4
	v_cndmask_b32_e32 v2, v7, v2, vcc
.LBB8_19:                               ;   Parent Loop BB8_3 Depth=1
                                        ; =>  This Loop Header: Depth=2
                                        ;       Child Loop BB8_23 Depth 3
	v_add_u32_e32 v7, s17, v0
	v_ashrrev_i32_e32 v8, 31, v7
	v_cmp_gt_u64_e32 vcc, s[2:3], v[7:8]
	s_waitcnt vmcnt(0) lgkmcnt(0)
	s_barrier
	s_and_saveexec_b64 s[0:1], vcc
	s_cbranch_execz .LBB8_21
; %bb.20:                               ;   in Loop: Header=BB8_19 Depth=2
	v_lshlrev_b64 v[7:8], 1, v[7:8]
	v_mov_b32_e32 v9, s15
	v_add_co_u32_e32 v7, vcc, s14, v7
	v_addc_co_u32_e32 v8, vcc, v9, v8, vcc
	global_load_ushort v7, v[7:8], off
	v_lshlrev_b32_e32 v8, 1, v0
	s_waitcnt vmcnt(0)
	v_sub_u16_e32 v7, v7, v11
	ds_write_b16 v8, v7
.LBB8_21:                               ;   in Loop: Header=BB8_19 Depth=2
	s_or_b64 exec, exec, s[0:1]
	s_add_i32 s10, s17, 0x100
	v_max_i32_e32 v7, s17, v6
	v_min_i32_e32 v8, s10, v2
	v_cmp_lt_i32_e32 vcc, v7, v8
	s_waitcnt lgkmcnt(0)
	s_barrier
	s_and_saveexec_b64 s[0:1], vcc
	s_cbranch_execz .LBB8_25
; %bb.22:                               ;   in Loop: Header=BB8_19 Depth=2
	s_mov_b64 s[8:9], 0
.LBB8_23:                               ;   Parent Loop BB8_3 Depth=1
                                        ;     Parent Loop BB8_19 Depth=2
                                        ; =>    This Inner Loop Header: Depth=3
	v_subrev_u32_e32 v9, s17, v7
	v_mul_lo_u32 v10, v7, s20
	v_lshlrev_b32_e32 v9, 1, v9
	ds_read_u16 v9, v9
	v_add_u32_e32 v7, 1, v7
	v_sub_u32_e32 v10, v10, v5
	v_cmp_ge_i32_e32 vcc, v7, v8
	v_sub_u32_e32 v17, 0, v10
	s_or_b64 s[8:9], vcc, s[8:9]
	s_waitcnt lgkmcnt(0)
	v_lshlrev_b32_e32 v20, v10, v9
	v_lshrrev_b32_e32 v9, v17, v9
	v_cmp_lt_i32_e32 vcc, 0, v10
	v_cndmask_b32_e32 v9, v9, v20, vcc
	v_or_b32_e32 v18, v9, v18
	s_andn2_b64 exec, exec, s[8:9]
	s_cbranch_execnz .LBB8_23
; %bb.24:                               ;   in Loop: Header=BB8_19 Depth=2
	s_or_b64 exec, exec, s[8:9]
.LBB8_25:                               ;   in Loop: Header=BB8_19 Depth=2
	s_or_b64 exec, exec, s[0:1]
; %bb.26:                               ;   in Loop: Header=BB8_19 Depth=2
	v_cmp_lt_i32_e32 vcc, s10, v19
	s_cbranch_vccz .LBB8_28
; %bb.27:                               ;   in Loop: Header=BB8_19 Depth=2
	s_mov_b32 s17, s10
	s_branch .LBB8_19
.LBB8_28:                               ;   in Loop: Header=BB8_3 Depth=1
	v_ashrrev_i32_e32 v7, 31, v6
	v_cmp_gt_u64_e32 vcc, s[2:3], v[6:7]
	s_and_saveexec_b64 s[0:1], vcc
	s_cbranch_execz .LBB8_2
; %bb.29:                               ;   in Loop: Header=BB8_3 Depth=1
	v_lshlrev_b64 v[2:3], 2, v[3:4]
	v_mov_b32_e32 v4, s13
	v_add_co_u32_e32 v2, vcc, s12, v2
	v_addc_co_u32_e32 v3, vcc, v4, v3, vcc
	global_store_dword v[2:3], v18, off
	s_branch .LBB8_2
.LBB8_30:                               ;   in Loop: Header=BB8_3 Depth=1
                                        ; implicit-def: $sgpr0_sgpr1
	s_branch .LBB8_13
.LBB8_31:                               ;   in Loop: Header=BB8_3 Depth=1
                                        ; implicit-def: $sgpr10_sgpr11
	s_branch .LBB8_16
.LBB8_32:
	s_endpgm
	.section	.rodata,"a",@progbits
	.p2align	6, 0x0
	.amdhsa_kernel _Z13bitPackKernelIsjEvPKhPKT_PT0_S4_PKm
		.amdhsa_group_segment_fixed_size 512
		.amdhsa_private_segment_fixed_size 0
		.amdhsa_kernarg_size 296
		.amdhsa_user_sgpr_count 6
		.amdhsa_user_sgpr_private_segment_buffer 1
		.amdhsa_user_sgpr_dispatch_ptr 0
		.amdhsa_user_sgpr_queue_ptr 0
		.amdhsa_user_sgpr_kernarg_segment_ptr 1
		.amdhsa_user_sgpr_dispatch_id 0
		.amdhsa_user_sgpr_flat_scratch_init 0
		.amdhsa_user_sgpr_private_segment_size 0
		.amdhsa_uses_dynamic_stack 0
		.amdhsa_system_sgpr_private_segment_wavefront_offset 0
		.amdhsa_system_sgpr_workgroup_id_x 1
		.amdhsa_system_sgpr_workgroup_id_y 0
		.amdhsa_system_sgpr_workgroup_id_z 0
		.amdhsa_system_sgpr_workgroup_info 0
		.amdhsa_system_vgpr_workitem_id 0
		.amdhsa_next_free_vgpr 24
		.amdhsa_next_free_sgpr 29
		.amdhsa_reserve_vcc 1
		.amdhsa_reserve_flat_scratch 0
		.amdhsa_float_round_mode_32 0
		.amdhsa_float_round_mode_16_64 0
		.amdhsa_float_denorm_mode_32 3
		.amdhsa_float_denorm_mode_16_64 3
		.amdhsa_dx10_clamp 1
		.amdhsa_ieee_mode 1
		.amdhsa_fp16_overflow 0
		.amdhsa_exception_fp_ieee_invalid_op 0
		.amdhsa_exception_fp_denorm_src 0
		.amdhsa_exception_fp_ieee_div_zero 0
		.amdhsa_exception_fp_ieee_overflow 0
		.amdhsa_exception_fp_ieee_underflow 0
		.amdhsa_exception_fp_ieee_inexact 0
		.amdhsa_exception_int_div_zero 0
	.end_amdhsa_kernel
	.section	.text._Z13bitPackKernelIsjEvPKhPKT_PT0_S4_PKm,"axG",@progbits,_Z13bitPackKernelIsjEvPKhPKT_PT0_S4_PKm,comdat
.Lfunc_end8:
	.size	_Z13bitPackKernelIsjEvPKhPKT_PT0_S4_PKm, .Lfunc_end8-_Z13bitPackKernelIsjEvPKhPKT_PT0_S4_PKm
                                        ; -- End function
	.set _Z13bitPackKernelIsjEvPKhPKT_PT0_S4_PKm.num_vgpr, 24
	.set _Z13bitPackKernelIsjEvPKhPKT_PT0_S4_PKm.num_agpr, 0
	.set _Z13bitPackKernelIsjEvPKhPKT_PT0_S4_PKm.numbered_sgpr, 29
	.set _Z13bitPackKernelIsjEvPKhPKT_PT0_S4_PKm.num_named_barrier, 0
	.set _Z13bitPackKernelIsjEvPKhPKT_PT0_S4_PKm.private_seg_size, 0
	.set _Z13bitPackKernelIsjEvPKhPKT_PT0_S4_PKm.uses_vcc, 1
	.set _Z13bitPackKernelIsjEvPKhPKT_PT0_S4_PKm.uses_flat_scratch, 0
	.set _Z13bitPackKernelIsjEvPKhPKT_PT0_S4_PKm.has_dyn_sized_stack, 0
	.set _Z13bitPackKernelIsjEvPKhPKT_PT0_S4_PKm.has_recursion, 0
	.set _Z13bitPackKernelIsjEvPKhPKT_PT0_S4_PKm.has_indirect_call, 0
	.section	.AMDGPU.csdata,"",@progbits
; Kernel info:
; codeLenInByte = 2712
; TotalNumSgprs: 33
; NumVgprs: 24
; ScratchSize: 0
; MemoryBound: 0
; FloatMode: 240
; IeeeMode: 1
; LDSByteSize: 512 bytes/workgroup (compile time only)
; SGPRBlocks: 4
; VGPRBlocks: 5
; NumSGPRsForWavesPerEU: 33
; NumVGPRsForWavesPerEU: 24
; Occupancy: 10
; WaveLimiterHint : 0
; COMPUTE_PGM_RSRC2:SCRATCH_EN: 0
; COMPUTE_PGM_RSRC2:USER_SGPR: 6
; COMPUTE_PGM_RSRC2:TRAP_HANDLER: 0
; COMPUTE_PGM_RSRC2:TGID_X_EN: 1
; COMPUTE_PGM_RSRC2:TGID_Y_EN: 0
; COMPUTE_PGM_RSRC2:TGID_Z_EN: 0
; COMPUTE_PGM_RSRC2:TIDIG_COMP_CNT: 0
	.section	.text._Z23bitPackConfigScanKernelIttEvPT_S1_PKT0_PKm,"axG",@progbits,_Z23bitPackConfigScanKernelIttEvPT_S1_PKT0_PKm,comdat
	.protected	_Z23bitPackConfigScanKernelIttEvPT_S1_PKT0_PKm ; -- Begin function _Z23bitPackConfigScanKernelIttEvPT_S1_PKT0_PKm
	.globl	_Z23bitPackConfigScanKernelIttEvPT_S1_PKT0_PKm
	.p2align	8
	.type	_Z23bitPackConfigScanKernelIttEvPT_S1_PKT0_PKm,@function
_Z23bitPackConfigScanKernelIttEvPT_S1_PKT0_PKm: ; @_Z23bitPackConfigScanKernelIttEvPT_S1_PKT0_PKm
; %bb.0:
	s_load_dwordx8 s[8:15], s[4:5], 0x0
	s_waitcnt lgkmcnt(0)
	s_load_dwordx2 s[0:1], s[14:15], 0x0
	s_mov_b32 s15, 0
	s_waitcnt lgkmcnt(0)
	s_lshr_b64 s[2:3], s[0:1], 8
	s_and_b32 s14, s0, 0xff
	s_cmp_lg_u64 s[14:15], 0
	s_cselect_b64 s[14:15], -1, 0
	s_cmp_lg_u64 s[14:15], 0
	s_addc_u32 s14, s2, 0
	s_cmp_ge_u32 s6, s14
	s_cbranch_scc1 .LBB9_82
; %bb.1:
	s_cmp_lt_i32 s6, s14
	s_cbranch_scc1 .LBB9_83
; %bb.2:
	s_cbranch_execz .LBB9_84
; %bb.3:
	s_mov_b32 s7, 0
	v_mov_b32_e32 v5, 0
	v_mov_b32_e32 v4, 0
.LBB9_4:
	v_lshlrev_b32_e32 v3, 1, v0
	s_movk_i32 s0, 0x7f
	v_cmp_lt_u32_e32 vcc, s0, v0
	v_add_u32_e32 v1, 0xffffff00, v3
	ds_write_b16 v3, v5 offset:512
	ds_write_b16 v3, v4
	s_waitcnt lgkmcnt(0)
	s_barrier
	s_and_saveexec_b64 s[0:1], vcc
	s_xor_b64 s[2:3], exec, s[0:1]
	s_cbranch_execz .LBB9_8
; %bb.5:
	v_cmp_gt_i32_e64 s[0:1], s7, v0
	s_and_saveexec_b64 s[4:5], s[0:1]
	s_cbranch_execz .LBB9_7
; %bb.6:
	ds_read_u16 v2, v1
	ds_read_u16 v4, v3
	s_waitcnt lgkmcnt(0)
	v_max_u16_e32 v2, v2, v4
	ds_write_b16 v1, v2
.LBB9_7:
	s_or_b64 exec, exec, s[4:5]
.LBB9_8:
	s_or_saveexec_b64 s[2:3], s[2:3]
	v_add_u32_e32 v2, 0x200, v3
	s_xor_b64 exec, exec, s[2:3]
	s_cbranch_execz .LBB9_12
; %bb.9:
	v_or_b32_e32 v4, 0x80, v0
	v_cmp_gt_i32_e64 s[0:1], s7, v4
	s_and_saveexec_b64 s[4:5], s[0:1]
	s_cbranch_execz .LBB9_11
; %bb.10:
	ds_read_u16 v4, v2
	ds_read_u16 v5, v2 offset:256
	s_waitcnt lgkmcnt(0)
	v_min_u16_e32 v4, v4, v5
	ds_write_b16 v2, v4
.LBB9_11:
	s_or_b64 exec, exec, s[4:5]
.LBB9_12:
	s_or_b64 exec, exec, s[2:3]
	s_waitcnt lgkmcnt(0)
	s_barrier
	s_and_saveexec_b64 s[0:1], vcc
	s_xor_b64 s[2:3], exec, s[0:1]
	s_cbranch_execz .LBB9_17
; %bb.13:
	s_movk_i32 s0, 0xc0
	v_cmp_gt_u32_e64 s[0:1], s0, v0
	s_and_saveexec_b64 s[4:5], s[0:1]
	s_cbranch_execz .LBB9_16
; %bb.14:
	v_subrev_u32_e32 v4, 64, v0
	v_cmp_gt_i32_e64 s[0:1], s7, v4
	s_and_b64 exec, exec, s[0:1]
	s_cbranch_execz .LBB9_16
; %bb.15:
	v_add_u32_e32 v4, 0xffffff80, v3
	ds_read_u16 v5, v1
	ds_read_u16 v4, v4
	s_waitcnt lgkmcnt(0)
	v_max_u16_e32 v4, v5, v4
	ds_write_b16 v1, v4
.LBB9_16:
	s_or_b64 exec, exec, s[4:5]
.LBB9_17:
	s_andn2_saveexec_b64 s[2:3], s[2:3]
	s_cbranch_execz .LBB9_22
; %bb.18:
	v_cmp_gt_u32_e64 s[0:1], 64, v0
	s_and_saveexec_b64 s[4:5], s[0:1]
	s_cbranch_execz .LBB9_21
; %bb.19:
	v_or_b32_e32 v4, 64, v0
	v_cmp_gt_i32_e64 s[0:1], s7, v4
	s_and_b64 exec, exec, s[0:1]
	s_cbranch_execz .LBB9_21
; %bb.20:
	ds_read_u16 v4, v2
	ds_read_u16 v5, v2 offset:128
	s_waitcnt lgkmcnt(0)
	v_min_u16_e32 v4, v4, v5
	ds_write_b16 v2, v4
.LBB9_21:
	s_or_b64 exec, exec, s[4:5]
.LBB9_22:
	s_or_b64 exec, exec, s[2:3]
	s_waitcnt lgkmcnt(0)
	s_barrier
	s_and_saveexec_b64 s[0:1], vcc
	s_xor_b64 s[2:3], exec, s[0:1]
	s_cbranch_execz .LBB9_27
; %bb.23:
	s_movk_i32 s0, 0xa0
	v_cmp_gt_u32_e64 s[0:1], s0, v0
	s_and_saveexec_b64 s[4:5], s[0:1]
	s_cbranch_execz .LBB9_26
; %bb.24:
	v_add_u32_e32 v4, 0xffffffa0, v0
	v_cmp_gt_i32_e64 s[0:1], s7, v4
	s_and_b64 exec, exec, s[0:1]
	s_cbranch_execz .LBB9_26
; %bb.25:
	v_add_u32_e32 v4, 0xffffff40, v3
	ds_read_u16 v5, v1
	ds_read_u16 v4, v4
	s_waitcnt lgkmcnt(0)
	v_max_u16_e32 v4, v5, v4
	ds_write_b16 v1, v4
.LBB9_26:
	s_or_b64 exec, exec, s[4:5]
.LBB9_27:
	s_andn2_saveexec_b64 s[2:3], s[2:3]
	s_cbranch_execz .LBB9_32
; %bb.28:
	v_cmp_gt_u32_e64 s[0:1], 32, v0
	s_and_saveexec_b64 s[4:5], s[0:1]
	s_cbranch_execz .LBB9_31
; %bb.29:
	v_or_b32_e32 v4, 32, v0
	v_cmp_gt_i32_e64 s[0:1], s7, v4
	s_and_b64 exec, exec, s[0:1]
	s_cbranch_execz .LBB9_31
; %bb.30:
	ds_read_u16 v4, v2
	ds_read_u16 v5, v2 offset:64
	s_waitcnt lgkmcnt(0)
	v_min_u16_e32 v4, v4, v5
	ds_write_b16 v2, v4
.LBB9_31:
	s_or_b64 exec, exec, s[4:5]
.LBB9_32:
	s_or_b64 exec, exec, s[2:3]
	s_waitcnt lgkmcnt(0)
	s_barrier
	s_and_saveexec_b64 s[0:1], vcc
	s_xor_b64 s[2:3], exec, s[0:1]
	s_cbranch_execz .LBB9_37
; %bb.33:
	s_movk_i32 s0, 0x90
	v_cmp_gt_u32_e64 s[0:1], s0, v0
	s_and_saveexec_b64 s[4:5], s[0:1]
	s_cbranch_execz .LBB9_36
; %bb.34:
	v_add_u32_e32 v4, 0xffffff90, v0
	v_cmp_gt_i32_e64 s[0:1], s7, v4
	s_and_b64 exec, exec, s[0:1]
	s_cbranch_execz .LBB9_36
; %bb.35:
	v_add_u32_e32 v4, 0xffffff20, v3
	ds_read_u16 v5, v1
	ds_read_u16 v4, v4
	s_waitcnt lgkmcnt(0)
	v_max_u16_e32 v4, v5, v4
	ds_write_b16 v1, v4
.LBB9_36:
	s_or_b64 exec, exec, s[4:5]
.LBB9_37:
	;; [unrolled: 46-line block ×5, first 2 shown]
	s_andn2_saveexec_b64 s[2:3], s[2:3]
	s_cbranch_execz .LBB9_72
; %bb.68:
	v_cmp_gt_u32_e64 s[0:1], 2, v0
	s_and_saveexec_b64 s[4:5], s[0:1]
	s_cbranch_execz .LBB9_71
; %bb.69:
	v_or_b32_e32 v3, 2, v0
	v_cmp_gt_i32_e64 s[0:1], s7, v3
	s_and_b64 exec, exec, s[0:1]
	s_cbranch_execz .LBB9_71
; %bb.70:
	ds_read_u16 v3, v2
	ds_read_u16 v4, v2 offset:4
	s_waitcnt lgkmcnt(0)
	v_min_u16_e32 v3, v3, v4
	ds_write_b16 v2, v3
.LBB9_71:
	s_or_b64 exec, exec, s[4:5]
.LBB9_72:
	s_or_b64 exec, exec, s[2:3]
	s_cmp_gt_i32 s7, 1
	s_cselect_b64 s[0:1], -1, 0
	s_waitcnt lgkmcnt(0)
	s_barrier
	s_and_saveexec_b64 s[2:3], vcc
	s_xor_b64 s[2:3], exec, s[2:3]
	s_cbranch_execz .LBB9_76
; %bb.73:
	s_movk_i32 s4, 0x80
	v_cmp_eq_u32_e32 vcc, s4, v0
	s_and_b64 s[12:13], vcc, s[0:1]
	s_and_saveexec_b64 s[4:5], s[12:13]
	s_cbranch_execz .LBB9_75
; %bb.74:
	v_mov_b32_e32 v2, 0
	ds_read_u16 v3, v1
	ds_read_u16 v2, v2 offset:2
	s_waitcnt lgkmcnt(0)
	v_max_u16_e32 v2, v3, v2
	ds_write_b16 v1, v2
.LBB9_75:
	s_or_b64 exec, exec, s[4:5]
                                        ; implicit-def: $vgpr2
.LBB9_76:
	s_andn2_saveexec_b64 s[2:3], s[2:3]
	s_cbranch_execz .LBB9_80
; %bb.77:
	v_cmp_eq_u32_e32 vcc, 0, v0
	s_and_b64 s[4:5], vcc, s[0:1]
	s_and_saveexec_b64 s[0:1], s[4:5]
	s_cbranch_execz .LBB9_79
; %bb.78:
	v_mov_b32_e32 v1, 0
	ds_read_u16 v3, v2
	ds_read_u16 v1, v1 offset:514
	s_waitcnt lgkmcnt(0)
	v_min_u16_e32 v1, v3, v1
	ds_write_b16 v2, v1
.LBB9_79:
	s_or_b64 exec, exec, s[0:1]
.LBB9_80:
	s_or_b64 exec, exec, s[2:3]
	s_mov_b32 s7, 0
	v_cmp_eq_u32_e32 vcc, 0, v0
	s_waitcnt lgkmcnt(0)
	s_barrier
	s_and_saveexec_b64 s[0:1], vcc
	s_cbranch_execz .LBB9_82
; %bb.81:
	v_mov_b32_e32 v0, 0
	s_lshl_b64 s[0:1], s[6:7], 1
	ds_read_u16 v1, v0 offset:512
	ds_read_u16 v2, v0
	s_add_u32 s2, s10, s0
	s_addc_u32 s3, s11, s1
	s_add_u32 s0, s8, s0
	s_addc_u32 s1, s9, s1
	s_waitcnt lgkmcnt(1)
	global_store_short v0, v1, s[0:1]
	s_waitcnt lgkmcnt(0)
	global_store_short v0, v2, s[2:3]
.LBB9_82:
	s_endpgm
.LBB9_83:
.LBB9_84:
	s_load_dword s2, s[4:5], 0x20
	s_lshl_b32 s1, s6, 8
	v_mov_b32_e32 v2, 0
	v_add_u32_e32 v1, s1, v0
	s_sub_i32 s3, s0, s1
	s_waitcnt lgkmcnt(0)
	s_lshl_b32 s4, s2, 8
	s_mov_b32 s5, 0
	v_mov_b32_e32 v5, v2
	v_mov_b32_e32 v4, v2
	s_mov_b32 s7, 0
	s_branch .LBB9_86
.LBB9_85:                               ;   in Loop: Header=BB9_86 Depth=1
	s_or_b64 exec, exec, s[0:1]
	s_add_i32 s5, s5, s2
	s_max_i32 s7, s7, s15
	s_add_i32 s0, s6, s5
	s_sub_i32 s3, s3, s4
	s_cmp_ge_i32 s0, s14
	v_add_u32_e32 v1, s4, v1
	s_cbranch_scc1 .LBB9_4
.LBB9_86:                               ; =>This Inner Loop Header: Depth=1
	s_min_i32 s15, s3, 0x100
	v_cmp_gt_u32_e32 vcc, s15, v0
	s_and_saveexec_b64 s[0:1], vcc
	s_cbranch_execz .LBB9_85
; %bb.87:                               ;   in Loop: Header=BB9_86 Depth=1
	v_lshlrev_b64 v[6:7], 1, v[1:2]
	v_mov_b32_e32 v3, s13
	v_add_co_u32_e32 v6, vcc, s12, v6
	v_addc_co_u32_e32 v7, vcc, v3, v7, vcc
	global_load_ushort v3, v[6:7], off
	s_cmp_eq_u32 s5, 0
	s_cselect_b64 vcc, -1, 0
	s_waitcnt vmcnt(0)
	v_min_u16_e32 v5, v3, v5
	v_max_u16_e32 v4, v3, v4
	v_cndmask_b32_e32 v4, v4, v3, vcc
	v_cndmask_b32_e32 v5, v5, v3, vcc
	s_branch .LBB9_85
	.section	.rodata,"a",@progbits
	.p2align	6, 0x0
	.amdhsa_kernel _Z23bitPackConfigScanKernelIttEvPT_S1_PKT0_PKm
		.amdhsa_group_segment_fixed_size 1024
		.amdhsa_private_segment_fixed_size 0
		.amdhsa_kernarg_size 288
		.amdhsa_user_sgpr_count 6
		.amdhsa_user_sgpr_private_segment_buffer 1
		.amdhsa_user_sgpr_dispatch_ptr 0
		.amdhsa_user_sgpr_queue_ptr 0
		.amdhsa_user_sgpr_kernarg_segment_ptr 1
		.amdhsa_user_sgpr_dispatch_id 0
		.amdhsa_user_sgpr_flat_scratch_init 0
		.amdhsa_user_sgpr_private_segment_size 0
		.amdhsa_uses_dynamic_stack 0
		.amdhsa_system_sgpr_private_segment_wavefront_offset 0
		.amdhsa_system_sgpr_workgroup_id_x 1
		.amdhsa_system_sgpr_workgroup_id_y 0
		.amdhsa_system_sgpr_workgroup_id_z 0
		.amdhsa_system_sgpr_workgroup_info 0
		.amdhsa_system_vgpr_workitem_id 0
		.amdhsa_next_free_vgpr 8
		.amdhsa_next_free_sgpr 16
		.amdhsa_reserve_vcc 1
		.amdhsa_reserve_flat_scratch 0
		.amdhsa_float_round_mode_32 0
		.amdhsa_float_round_mode_16_64 0
		.amdhsa_float_denorm_mode_32 3
		.amdhsa_float_denorm_mode_16_64 3
		.amdhsa_dx10_clamp 1
		.amdhsa_ieee_mode 1
		.amdhsa_fp16_overflow 0
		.amdhsa_exception_fp_ieee_invalid_op 0
		.amdhsa_exception_fp_denorm_src 0
		.amdhsa_exception_fp_ieee_div_zero 0
		.amdhsa_exception_fp_ieee_overflow 0
		.amdhsa_exception_fp_ieee_underflow 0
		.amdhsa_exception_fp_ieee_inexact 0
		.amdhsa_exception_int_div_zero 0
	.end_amdhsa_kernel
	.section	.text._Z23bitPackConfigScanKernelIttEvPT_S1_PKT0_PKm,"axG",@progbits,_Z23bitPackConfigScanKernelIttEvPT_S1_PKT0_PKm,comdat
.Lfunc_end9:
	.size	_Z23bitPackConfigScanKernelIttEvPT_S1_PKT0_PKm, .Lfunc_end9-_Z23bitPackConfigScanKernelIttEvPT_S1_PKT0_PKm
                                        ; -- End function
	.set _Z23bitPackConfigScanKernelIttEvPT_S1_PKT0_PKm.num_vgpr, 8
	.set _Z23bitPackConfigScanKernelIttEvPT_S1_PKT0_PKm.num_agpr, 0
	.set _Z23bitPackConfigScanKernelIttEvPT_S1_PKT0_PKm.numbered_sgpr, 16
	.set _Z23bitPackConfigScanKernelIttEvPT_S1_PKT0_PKm.num_named_barrier, 0
	.set _Z23bitPackConfigScanKernelIttEvPT_S1_PKT0_PKm.private_seg_size, 0
	.set _Z23bitPackConfigScanKernelIttEvPT_S1_PKT0_PKm.uses_vcc, 1
	.set _Z23bitPackConfigScanKernelIttEvPT_S1_PKT0_PKm.uses_flat_scratch, 0
	.set _Z23bitPackConfigScanKernelIttEvPT_S1_PKT0_PKm.has_dyn_sized_stack, 0
	.set _Z23bitPackConfigScanKernelIttEvPT_S1_PKT0_PKm.has_recursion, 0
	.set _Z23bitPackConfigScanKernelIttEvPT_S1_PKT0_PKm.has_indirect_call, 0
	.section	.AMDGPU.csdata,"",@progbits
; Kernel info:
; codeLenInByte = 1840
; TotalNumSgprs: 20
; NumVgprs: 8
; ScratchSize: 0
; MemoryBound: 0
; FloatMode: 240
; IeeeMode: 1
; LDSByteSize: 1024 bytes/workgroup (compile time only)
; SGPRBlocks: 2
; VGPRBlocks: 1
; NumSGPRsForWavesPerEU: 20
; NumVGPRsForWavesPerEU: 8
; Occupancy: 10
; WaveLimiterHint : 0
; COMPUTE_PGM_RSRC2:SCRATCH_EN: 0
; COMPUTE_PGM_RSRC2:USER_SGPR: 6
; COMPUTE_PGM_RSRC2:TRAP_HANDLER: 0
; COMPUTE_PGM_RSRC2:TGID_X_EN: 1
; COMPUTE_PGM_RSRC2:TGID_Y_EN: 0
; COMPUTE_PGM_RSRC2:TGID_Z_EN: 0
; COMPUTE_PGM_RSRC2:TIDIG_COMP_CNT: 0
	.section	.text._Z27bitPackConfigFinalizeKernelIttEvPKT_S2_PhPT0_PKm,"axG",@progbits,_Z27bitPackConfigFinalizeKernelIttEvPKT_S2_PhPT0_PKm,comdat
	.protected	_Z27bitPackConfigFinalizeKernelIttEvPKT_S2_PhPT0_PKm ; -- Begin function _Z27bitPackConfigFinalizeKernelIttEvPKT_S2_PhPT0_PKm
	.globl	_Z27bitPackConfigFinalizeKernelIttEvPKT_S2_PhPT0_PKm
	.p2align	8
	.type	_Z27bitPackConfigFinalizeKernelIttEvPKT_S2_PhPT0_PKm,@function
_Z27bitPackConfigFinalizeKernelIttEvPKT_S2_PhPT0_PKm: ; @_Z27bitPackConfigFinalizeKernelIttEvPKT_S2_PhPT0_PKm
; %bb.0:
	s_load_dwordx2 s[0:1], s[4:5], 0x20
	s_mov_b32 s3, 0
	s_load_dwordx8 s[8:15], s[4:5], 0x0
	v_mov_b32_e32 v3, 0x1000
	v_lshlrev_b32_e32 v7, 1, v0
	s_waitcnt lgkmcnt(0)
	s_load_dwordx2 s[0:1], s[0:1], 0x0
	s_waitcnt lgkmcnt(0)
	s_lshr_b64 s[4:5], s[0:1], 8
	s_and_b32 s2, s0, 0xff
	s_cmp_lg_u64 s[2:3], 0
	s_cselect_b64 s[0:1], -1, 0
	v_cndmask_b32_e64 v1, 0, 1, s[0:1]
	v_mov_b32_e32 v2, s5
	v_add_co_u32_e32 v1, vcc, s4, v1
	v_addc_co_u32_e32 v2, vcc, 0, v2, vcc
	s_mov_b64 s[0:1], 0x1000
	v_cmp_gt_u64_e32 vcc, s[0:1], v[1:2]
	v_cndmask_b32_e32 v8, v3, v1, vcc
	v_cmp_lt_u32_e32 vcc, v0, v8
	s_and_saveexec_b64 s[4:5], vcc
	s_cbranch_execz .LBB10_6
; %bb.1:
	global_load_ushort v9, v7, s[8:9]
	global_load_ushort v10, v7, s[10:11]
	v_add_u32_e32 v11, 0x100, v0
	v_cmp_lt_u32_e32 vcc, v11, v8
	s_and_saveexec_b64 s[6:7], vcc
	s_cbranch_execz .LBB10_5
; %bb.2:
	v_add_co_u32_e32 v5, vcc, 0x200, v7
	v_addc_co_u32_e64 v6, s[0:1], 0, 0, vcc
	v_mov_b32_e32 v4, s9
	v_add_co_u32_e32 v3, vcc, s8, v5
	v_addc_co_u32_e32 v4, vcc, v4, v6, vcc
	v_mov_b32_e32 v12, s11
	v_add_co_u32_e32 v5, vcc, s10, v5
	v_addc_co_u32_e32 v6, vcc, v12, v6, vcc
	s_mov_b64 s[8:9], 0
	s_movk_i32 s10, 0xeff
.LBB10_3:                               ; =>This Inner Loop Header: Depth=1
	global_load_ushort v12, v[3:4], off
	global_load_ushort v13, v[5:6], off
	v_add_u32_e32 v14, 0x100, v11
	v_cmp_lt_u32_e64 s[0:1], s10, v11
	v_add_co_u32_e32 v3, vcc, 0x200, v3
	v_cmp_ge_u32_e64 s[2:3], v14, v8
	v_addc_co_u32_e32 v4, vcc, 0, v4, vcc
	s_or_b64 s[0:1], s[0:1], s[2:3]
	v_add_co_u32_e32 v5, vcc, 0x200, v5
	s_and_b64 s[0:1], exec, s[0:1]
	v_mov_b32_e32 v11, v14
	v_addc_co_u32_e32 v6, vcc, 0, v6, vcc
	s_or_b64 s[8:9], s[0:1], s[8:9]
	s_waitcnt vmcnt(1)
	v_min_u16_e32 v9, v12, v9
	s_waitcnt vmcnt(0)
	v_max_u16_e32 v10, v13, v10
	s_andn2_b64 exec, exec, s[8:9]
	s_cbranch_execnz .LBB10_3
; %bb.4:
	s_or_b64 exec, exec, s[8:9]
.LBB10_5:
	s_or_b64 exec, exec, s[6:7]
	s_waitcnt vmcnt(1)
	ds_write_b16 v7, v9 offset:512
	s_waitcnt vmcnt(0)
	ds_write_b16 v7, v10
.LBB10_6:
	s_or_b64 exec, exec, s[4:5]
	s_movk_i32 s0, 0x7f
	v_min_u32_e32 v5, 0x100, v8
	v_cmp_lt_u32_e32 vcc, s0, v0
	v_add_u32_e32 v3, 0xffffff00, v7
	s_waitcnt lgkmcnt(0)
	s_barrier
	s_and_saveexec_b64 s[0:1], vcc
	s_xor_b64 s[2:3], exec, s[0:1]
	s_cbranch_execz .LBB10_10
; %bb.7:
	v_cmp_lt_u32_e64 s[0:1], v0, v5
	s_and_saveexec_b64 s[4:5], s[0:1]
	s_cbranch_execz .LBB10_9
; %bb.8:
	ds_read_u16 v4, v3
	ds_read_u16 v6, v7
	s_waitcnt lgkmcnt(0)
	v_max_u16_e32 v4, v4, v6
	ds_write_b16 v3, v4
.LBB10_9:
	s_or_b64 exec, exec, s[4:5]
.LBB10_10:
	s_or_saveexec_b64 s[2:3], s[2:3]
	v_add_u32_e32 v4, 0x200, v7
	s_xor_b64 exec, exec, s[2:3]
	s_cbranch_execz .LBB10_14
; %bb.11:
	v_or_b32_e32 v6, 0x80, v0
	v_cmp_lt_u32_e64 s[0:1], v6, v5
	s_and_saveexec_b64 s[4:5], s[0:1]
	s_cbranch_execz .LBB10_13
; %bb.12:
	ds_read_u16 v6, v4
	ds_read_u16 v8, v4 offset:256
	s_waitcnt lgkmcnt(0)
	v_min_u16_e32 v6, v6, v8
	ds_write_b16 v4, v6
.LBB10_13:
	s_or_b64 exec, exec, s[4:5]
.LBB10_14:
	s_or_b64 exec, exec, s[2:3]
	s_waitcnt lgkmcnt(0)
	s_barrier
	s_and_saveexec_b64 s[0:1], vcc
	s_xor_b64 s[2:3], exec, s[0:1]
	s_cbranch_execz .LBB10_19
; %bb.15:
	s_movk_i32 s0, 0xc0
	v_cmp_gt_u32_e64 s[0:1], s0, v0
	s_and_saveexec_b64 s[4:5], s[0:1]
	s_cbranch_execz .LBB10_18
; %bb.16:
	v_subrev_u32_e32 v6, 64, v0
	v_cmp_lt_u32_e64 s[0:1], v6, v5
	s_and_b64 exec, exec, s[0:1]
	s_cbranch_execz .LBB10_18
; %bb.17:
	v_add_u32_e32 v6, 0xffffff80, v7
	ds_read_u16 v8, v3
	ds_read_u16 v6, v6
	s_waitcnt lgkmcnt(0)
	v_max_u16_e32 v6, v8, v6
	ds_write_b16 v3, v6
.LBB10_18:
	s_or_b64 exec, exec, s[4:5]
.LBB10_19:
	s_andn2_saveexec_b64 s[2:3], s[2:3]
	s_cbranch_execz .LBB10_24
; %bb.20:
	v_cmp_gt_u32_e64 s[0:1], 64, v0
	s_and_saveexec_b64 s[4:5], s[0:1]
	s_cbranch_execz .LBB10_23
; %bb.21:
	v_or_b32_e32 v6, 64, v0
	v_cmp_lt_u32_e64 s[0:1], v6, v5
	s_and_b64 exec, exec, s[0:1]
	s_cbranch_execz .LBB10_23
; %bb.22:
	ds_read_u16 v6, v4
	ds_read_u16 v8, v4 offset:128
	s_waitcnt lgkmcnt(0)
	v_min_u16_e32 v6, v6, v8
	ds_write_b16 v4, v6
.LBB10_23:
	s_or_b64 exec, exec, s[4:5]
.LBB10_24:
	s_or_b64 exec, exec, s[2:3]
	s_waitcnt lgkmcnt(0)
	s_barrier
	s_and_saveexec_b64 s[0:1], vcc
	s_xor_b64 s[2:3], exec, s[0:1]
	s_cbranch_execz .LBB10_29
; %bb.25:
	s_movk_i32 s0, 0xa0
	v_cmp_gt_u32_e64 s[0:1], s0, v0
	s_and_saveexec_b64 s[4:5], s[0:1]
	s_cbranch_execz .LBB10_28
; %bb.26:
	v_add_u32_e32 v6, 0xffffffa0, v0
	v_cmp_lt_u32_e64 s[0:1], v6, v5
	s_and_b64 exec, exec, s[0:1]
	s_cbranch_execz .LBB10_28
; %bb.27:
	v_add_u32_e32 v6, 0xffffff40, v7
	ds_read_u16 v8, v3
	ds_read_u16 v6, v6
	s_waitcnt lgkmcnt(0)
	v_max_u16_e32 v6, v8, v6
	ds_write_b16 v3, v6
.LBB10_28:
	s_or_b64 exec, exec, s[4:5]
.LBB10_29:
	s_andn2_saveexec_b64 s[2:3], s[2:3]
	s_cbranch_execz .LBB10_34
; %bb.30:
	v_cmp_gt_u32_e64 s[0:1], 32, v0
	s_and_saveexec_b64 s[4:5], s[0:1]
	s_cbranch_execz .LBB10_33
; %bb.31:
	v_or_b32_e32 v6, 32, v0
	v_cmp_lt_u32_e64 s[0:1], v6, v5
	s_and_b64 exec, exec, s[0:1]
	s_cbranch_execz .LBB10_33
; %bb.32:
	ds_read_u16 v6, v4
	ds_read_u16 v8, v4 offset:64
	s_waitcnt lgkmcnt(0)
	v_min_u16_e32 v6, v6, v8
	ds_write_b16 v4, v6
.LBB10_33:
	s_or_b64 exec, exec, s[4:5]
.LBB10_34:
	s_or_b64 exec, exec, s[2:3]
	s_waitcnt lgkmcnt(0)
	s_barrier
	s_and_saveexec_b64 s[0:1], vcc
	s_xor_b64 s[2:3], exec, s[0:1]
	s_cbranch_execz .LBB10_39
; %bb.35:
	s_movk_i32 s0, 0x90
	v_cmp_gt_u32_e64 s[0:1], s0, v0
	s_and_saveexec_b64 s[4:5], s[0:1]
	s_cbranch_execz .LBB10_38
; %bb.36:
	v_add_u32_e32 v6, 0xffffff90, v0
	v_cmp_lt_u32_e64 s[0:1], v6, v5
	s_and_b64 exec, exec, s[0:1]
	s_cbranch_execz .LBB10_38
; %bb.37:
	v_add_u32_e32 v6, 0xffffff20, v7
	ds_read_u16 v8, v3
	ds_read_u16 v6, v6
	s_waitcnt lgkmcnt(0)
	v_max_u16_e32 v6, v8, v6
	ds_write_b16 v3, v6
.LBB10_38:
	s_or_b64 exec, exec, s[4:5]
.LBB10_39:
	;; [unrolled: 46-line block ×4, first 2 shown]
	s_andn2_saveexec_b64 s[2:3], s[2:3]
	s_cbranch_execz .LBB10_64
; %bb.60:
	v_cmp_gt_u32_e64 s[0:1], 4, v0
	s_and_saveexec_b64 s[4:5], s[0:1]
	s_cbranch_execz .LBB10_63
; %bb.61:
	v_or_b32_e32 v6, 4, v0
	v_cmp_lt_u32_e64 s[0:1], v6, v5
	s_and_b64 exec, exec, s[0:1]
	s_cbranch_execz .LBB10_63
; %bb.62:
	ds_read_u16 v6, v4
	ds_read_u16 v8, v4 offset:8
	s_waitcnt lgkmcnt(0)
	v_min_u16_e32 v6, v6, v8
	ds_write_b16 v4, v6
.LBB10_63:
	s_or_b64 exec, exec, s[4:5]
.LBB10_64:
	s_or_b64 exec, exec, s[2:3]
	s_waitcnt lgkmcnt(0)
	s_barrier
	s_and_saveexec_b64 s[0:1], vcc
	s_xor_b64 s[2:3], exec, s[0:1]
	s_cbranch_execz .LBB10_69
; %bb.65:
	s_movk_i32 s0, 0x82
	v_cmp_gt_u32_e64 s[0:1], s0, v0
	s_and_saveexec_b64 s[4:5], s[0:1]
	s_cbranch_execz .LBB10_68
; %bb.66:
	v_add_u32_e32 v6, 0xffffff82, v0
	v_cmp_lt_u32_e64 s[0:1], v6, v5
	s_and_b64 exec, exec, s[0:1]
	s_cbranch_execz .LBB10_68
; %bb.67:
	v_add_u32_e32 v5, 0xffffff04, v7
	ds_read_u16 v6, v3
	ds_read_u16 v5, v5
	s_waitcnt lgkmcnt(0)
	v_max_u16_e32 v5, v6, v5
	ds_write_b16 v3, v5
.LBB10_68:
	s_or_b64 exec, exec, s[4:5]
                                        ; implicit-def: $vgpr5
.LBB10_69:
	s_andn2_saveexec_b64 s[2:3], s[2:3]
	s_cbranch_execz .LBB10_74
; %bb.70:
	v_cmp_gt_u32_e64 s[0:1], 2, v0
	s_and_saveexec_b64 s[4:5], s[0:1]
	s_cbranch_execz .LBB10_73
; %bb.71:
	v_or_b32_e32 v6, 2, v0
	v_cmp_lt_u32_e64 s[0:1], v6, v5
	s_and_b64 exec, exec, s[0:1]
	s_cbranch_execz .LBB10_73
; %bb.72:
	ds_read_u16 v5, v4
	ds_read_u16 v6, v4 offset:4
	s_waitcnt lgkmcnt(0)
	v_min_u16_e32 v5, v5, v6
	ds_write_b16 v4, v5
.LBB10_73:
	s_or_b64 exec, exec, s[4:5]
.LBB10_74:
	s_or_b64 exec, exec, s[2:3]
	v_cmp_lt_u64_e64 s[0:1], 1, v[1:2]
	s_waitcnt lgkmcnt(0)
	s_barrier
	s_and_saveexec_b64 s[2:3], vcc
	s_xor_b64 s[2:3], exec, s[2:3]
	s_cbranch_execz .LBB10_78
; %bb.75:
	s_movk_i32 s4, 0x80
	v_cmp_eq_u32_e32 vcc, s4, v0
	s_and_b64 s[6:7], vcc, s[0:1]
	s_and_saveexec_b64 s[4:5], s[6:7]
	s_cbranch_execz .LBB10_77
; %bb.76:
	v_mov_b32_e32 v1, 0
	ds_read_u16 v2, v3
	ds_read_u16 v1, v1 offset:2
	s_waitcnt lgkmcnt(0)
	v_max_u16_e32 v1, v2, v1
	ds_write_b16 v3, v1
.LBB10_77:
	s_or_b64 exec, exec, s[4:5]
                                        ; implicit-def: $vgpr4
.LBB10_78:
	s_andn2_saveexec_b64 s[2:3], s[2:3]
	s_cbranch_execz .LBB10_82
; %bb.79:
	v_cmp_eq_u32_e32 vcc, 0, v0
	s_and_b64 s[4:5], vcc, s[0:1]
	s_and_saveexec_b64 s[0:1], s[4:5]
	s_cbranch_execz .LBB10_81
; %bb.80:
	v_mov_b32_e32 v1, 0
	ds_read_u16 v2, v4
	ds_read_u16 v1, v1 offset:514
	s_waitcnt lgkmcnt(0)
	v_min_u16_e32 v1, v2, v1
	ds_write_b16 v4, v1
.LBB10_81:
	s_or_b64 exec, exec, s[0:1]
.LBB10_82:
	s_or_b64 exec, exec, s[2:3]
	v_cmp_eq_u32_e32 vcc, 0, v0
	s_waitcnt lgkmcnt(0)
	s_barrier
	s_and_saveexec_b64 s[0:1], vcc
	s_cbranch_execz .LBB10_84
; %bb.83:
	v_mov_b32_e32 v0, 0
	ds_read_u16 v1, v0 offset:512
	ds_read_u16 v2, v0
	s_waitcnt lgkmcnt(1)
	global_store_short v0, v1, s[14:15]
	s_waitcnt lgkmcnt(0)
	v_sub_u32_sdwa v1, v2, v1 dst_sel:DWORD dst_unused:UNUSED_PAD src0_sel:DWORD src1_sel:WORD_0
	v_ffbh_u32_e32 v1, v1
	v_min_u32_e32 v1, 0xffff, v1
	v_sub_u16_e64 v1, 32, v1 clamp
	global_store_byte v0, v1, s[12:13]
.LBB10_84:
	s_endpgm
	.section	.rodata,"a",@progbits
	.p2align	6, 0x0
	.amdhsa_kernel _Z27bitPackConfigFinalizeKernelIttEvPKT_S2_PhPT0_PKm
		.amdhsa_group_segment_fixed_size 1024
		.amdhsa_private_segment_fixed_size 0
		.amdhsa_kernarg_size 40
		.amdhsa_user_sgpr_count 6
		.amdhsa_user_sgpr_private_segment_buffer 1
		.amdhsa_user_sgpr_dispatch_ptr 0
		.amdhsa_user_sgpr_queue_ptr 0
		.amdhsa_user_sgpr_kernarg_segment_ptr 1
		.amdhsa_user_sgpr_dispatch_id 0
		.amdhsa_user_sgpr_flat_scratch_init 0
		.amdhsa_user_sgpr_private_segment_size 0
		.amdhsa_uses_dynamic_stack 0
		.amdhsa_system_sgpr_private_segment_wavefront_offset 0
		.amdhsa_system_sgpr_workgroup_id_x 1
		.amdhsa_system_sgpr_workgroup_id_y 0
		.amdhsa_system_sgpr_workgroup_id_z 0
		.amdhsa_system_sgpr_workgroup_info 0
		.amdhsa_system_vgpr_workitem_id 0
		.amdhsa_next_free_vgpr 15
		.amdhsa_next_free_sgpr 16
		.amdhsa_reserve_vcc 1
		.amdhsa_reserve_flat_scratch 0
		.amdhsa_float_round_mode_32 0
		.amdhsa_float_round_mode_16_64 0
		.amdhsa_float_denorm_mode_32 3
		.amdhsa_float_denorm_mode_16_64 3
		.amdhsa_dx10_clamp 1
		.amdhsa_ieee_mode 1
		.amdhsa_fp16_overflow 0
		.amdhsa_exception_fp_ieee_invalid_op 0
		.amdhsa_exception_fp_denorm_src 0
		.amdhsa_exception_fp_ieee_div_zero 0
		.amdhsa_exception_fp_ieee_overflow 0
		.amdhsa_exception_fp_ieee_underflow 0
		.amdhsa_exception_fp_ieee_inexact 0
		.amdhsa_exception_int_div_zero 0
	.end_amdhsa_kernel
	.section	.text._Z27bitPackConfigFinalizeKernelIttEvPKT_S2_PhPT0_PKm,"axG",@progbits,_Z27bitPackConfigFinalizeKernelIttEvPKT_S2_PhPT0_PKm,comdat
.Lfunc_end10:
	.size	_Z27bitPackConfigFinalizeKernelIttEvPKT_S2_PhPT0_PKm, .Lfunc_end10-_Z27bitPackConfigFinalizeKernelIttEvPKT_S2_PhPT0_PKm
                                        ; -- End function
	.set _Z27bitPackConfigFinalizeKernelIttEvPKT_S2_PhPT0_PKm.num_vgpr, 15
	.set _Z27bitPackConfigFinalizeKernelIttEvPKT_S2_PhPT0_PKm.num_agpr, 0
	.set _Z27bitPackConfigFinalizeKernelIttEvPKT_S2_PhPT0_PKm.numbered_sgpr, 16
	.set _Z27bitPackConfigFinalizeKernelIttEvPKT_S2_PhPT0_PKm.num_named_barrier, 0
	.set _Z27bitPackConfigFinalizeKernelIttEvPKT_S2_PhPT0_PKm.private_seg_size, 0
	.set _Z27bitPackConfigFinalizeKernelIttEvPKT_S2_PhPT0_PKm.uses_vcc, 1
	.set _Z27bitPackConfigFinalizeKernelIttEvPKT_S2_PhPT0_PKm.uses_flat_scratch, 0
	.set _Z27bitPackConfigFinalizeKernelIttEvPKT_S2_PhPT0_PKm.has_dyn_sized_stack, 0
	.set _Z27bitPackConfigFinalizeKernelIttEvPKT_S2_PhPT0_PKm.has_recursion, 0
	.set _Z27bitPackConfigFinalizeKernelIttEvPKT_S2_PhPT0_PKm.has_indirect_call, 0
	.section	.AMDGPU.csdata,"",@progbits
; Kernel info:
; codeLenInByte = 1920
; TotalNumSgprs: 20
; NumVgprs: 15
; ScratchSize: 0
; MemoryBound: 0
; FloatMode: 240
; IeeeMode: 1
; LDSByteSize: 1024 bytes/workgroup (compile time only)
; SGPRBlocks: 2
; VGPRBlocks: 3
; NumSGPRsForWavesPerEU: 20
; NumVGPRsForWavesPerEU: 15
; Occupancy: 10
; WaveLimiterHint : 0
; COMPUTE_PGM_RSRC2:SCRATCH_EN: 0
; COMPUTE_PGM_RSRC2:USER_SGPR: 6
; COMPUTE_PGM_RSRC2:TRAP_HANDLER: 0
; COMPUTE_PGM_RSRC2:TGID_X_EN: 1
; COMPUTE_PGM_RSRC2:TGID_Y_EN: 0
; COMPUTE_PGM_RSRC2:TGID_Z_EN: 0
; COMPUTE_PGM_RSRC2:TIDIG_COMP_CNT: 0
	.section	.text._Z13bitPackKernelItjEvPKhPKT_PT0_S4_PKm,"axG",@progbits,_Z13bitPackKernelItjEvPKhPKT_PT0_S4_PKm,comdat
	.protected	_Z13bitPackKernelItjEvPKhPKT_PT0_S4_PKm ; -- Begin function _Z13bitPackKernelItjEvPKhPKT_PT0_S4_PKm
	.globl	_Z13bitPackKernelItjEvPKhPKT_PT0_S4_PKm
	.p2align	8
	.type	_Z13bitPackKernelItjEvPKhPKT_PT0_S4_PKm,@function
_Z13bitPackKernelItjEvPKhPKT_PT0_S4_PKm: ; @_Z13bitPackKernelItjEvPKhPKT_PT0_S4_PKm
; %bb.0:
	s_load_dwordx2 s[0:1], s[4:5], 0x20
	s_mov_b32 s16, 0
	s_mov_b32 s9, s16
	s_waitcnt lgkmcnt(0)
	s_load_dwordx2 s[2:3], s[0:1], 0x0
	s_waitcnt lgkmcnt(0)
	s_lshr_b64 s[0:1], s[2:3], 8
	s_and_b32 s8, s2, 0xff
	s_cmp_lg_u64 s[8:9], 0
	s_cselect_b64 s[8:9], -1, 0
	s_cmp_lg_u64 s[8:9], 0
	s_addc_u32 s7, s0, 0
	s_cmp_ge_i32 s6, s7
	s_cbranch_scc1 .LBB11_32
; %bb.1:
	s_load_dwordx8 s[8:15], s[4:5], 0x0
	v_mov_b32_e32 v1, 0
	v_mov_b32_e32 v4, 0x4f800000
	;; [unrolled: 1-line block ×3, first 2 shown]
	s_waitcnt lgkmcnt(0)
	global_load_ubyte v2, v1, s[8:9]
	global_load_ushort v11, v1, s[10:11]
	s_load_dword s21, s[4:5], 0x28
	s_bfe_i64 s[4:5], s[2:3], 0x200000
	s_waitcnt vmcnt(1)
	v_readfirstlane_b32 s20, v2
	v_cvt_f32_u32_e32 v2, s20
	v_cvt_f32_u32_e32 v3, s20
	s_sub_i32 s22, 0, s20
	v_rcp_iflag_f32_e32 v2, v2
	v_mac_f32_e32 v3, 0, v4
	v_rcp_f32_e32 v3, v3
	v_mul_f32_e32 v2, 0x4f7ffffe, v2
	v_cvt_u32_f32_e32 v12, v2
	v_mul_f32_e32 v2, 0x5f7ffffc, v3
	v_mul_f32_e32 v4, 0x2f800000, v2
	v_trunc_f32_e32 v4, v4
	v_mul_lo_u32 v3, s22, v12
	v_mac_f32_e32 v2, 0xcf800000, v4
	v_cvt_u32_f32_e32 v13, v4
	v_cvt_u32_f32_e32 v14, v2
	v_mul_hi_u32 v3, v12, v3
	v_add_u32_e32 v15, v12, v3
	s_branch .LBB11_3
.LBB11_2:                               ;   in Loop: Header=BB11_3 Depth=1
	s_or_b64 exec, exec, s[0:1]
	s_waitcnt lgkmcnt(0)
	s_add_i32 s6, s21, s6
	s_cmp_ge_i32 s6, s7
	s_cbranch_scc1 .LBB11_32
.LBB11_3:                               ; =>This Loop Header: Depth=1
                                        ;     Child Loop BB11_19 Depth 2
                                        ;       Child Loop BB11_23 Depth 3
	s_lshl_b32 s8, s6, 8
	v_add_u32_e32 v3, s8, v0
	v_ashrrev_i32_e32 v4, 31, v3
	v_lshlrev_b64 v[5:6], 5, v[3:4]
                                        ; implicit-def: $vgpr7_vgpr8
	v_mov_b32_e32 v2, v6
	v_cmp_ne_u64_e32 vcc, 0, v[1:2]
	s_and_saveexec_b64 s[0:1], vcc
	s_xor_b64 s[10:11], exec, s[0:1]
	s_cbranch_execz .LBB11_5
; %bb.4:                                ;   in Loop: Header=BB11_3 Depth=1
	s_sub_u32 s9, 0, s20
	v_readfirstlane_b32 s0, v14
	v_readfirstlane_b32 s19, v13
	s_subb_u32 s17, 0, 0
	s_mul_hi_u32 s18, s9, s0
	s_mul_i32 s23, s9, s19
	s_mul_i32 s1, s17, s0
	s_add_i32 s18, s18, s23
	s_add_i32 s18, s18, s1
	s_mul_i32 s24, s9, s0
	s_mul_i32 s23, s0, s18
	s_mul_hi_u32 s25, s0, s24
	s_mul_hi_u32 s1, s0, s18
	s_add_u32 s23, s25, s23
	s_addc_u32 s1, 0, s1
	s_mul_hi_u32 s26, s19, s24
	s_mul_i32 s24, s19, s24
	s_add_u32 s23, s23, s24
	s_mul_hi_u32 s25, s19, s18
	s_addc_u32 s1, s1, s26
	s_addc_u32 s23, s25, 0
	s_mul_i32 s18, s19, s18
	s_add_u32 s1, s1, s18
	s_addc_u32 s18, 0, s23
	s_add_u32 s23, s0, s1
	s_cselect_b64 s[0:1], -1, 0
	s_cmp_lg_u64 s[0:1], 0
	s_addc_u32 s18, s19, s18
	s_mul_i32 s0, s9, s18
	s_mul_hi_u32 s1, s9, s23
	s_add_i32 s0, s1, s0
	s_mul_i32 s17, s17, s23
	s_add_i32 s0, s0, s17
	s_mul_i32 s9, s9, s23
	s_mul_hi_u32 s17, s18, s9
	s_mul_i32 s19, s18, s9
	s_mul_i32 s25, s23, s0
	s_mul_hi_u32 s9, s23, s9
	s_mul_hi_u32 s24, s23, s0
	s_add_u32 s9, s9, s25
	s_addc_u32 s24, 0, s24
	s_add_u32 s9, s9, s19
	s_mul_hi_u32 s1, s18, s0
	s_addc_u32 s9, s24, s17
	s_addc_u32 s1, s1, 0
	s_mul_i32 s0, s18, s0
	s_add_u32 s0, s9, s0
	s_addc_u32 s9, 0, s1
	s_add_u32 s17, s23, s0
	s_cselect_b64 s[0:1], -1, 0
	s_cmp_lg_u64 s[0:1], 0
	s_addc_u32 s9, s18, s9
	v_mad_u64_u32 v[7:8], s[0:1], v5, s9, 0
	v_mul_hi_u32 v2, v5, s17
	v_mad_u64_u32 v[9:10], s[0:1], v6, s9, 0
	v_add_co_u32_e32 v2, vcc, v2, v7
	v_addc_co_u32_e32 v17, vcc, 0, v8, vcc
	v_mad_u64_u32 v[7:8], s[0:1], v6, s17, 0
	v_add_co_u32_e32 v2, vcc, v2, v7
	v_addc_co_u32_e32 v2, vcc, v17, v8, vcc
	v_addc_co_u32_e32 v7, vcc, 0, v10, vcc
	v_add_co_u32_e32 v10, vcc, v2, v9
	v_addc_co_u32_e32 v17, vcc, 0, v7, vcc
	v_mad_u64_u32 v[7:8], s[0:1], s20, v10, 0
	v_mov_b32_e32 v2, v8
	v_mad_u64_u32 v[8:9], s[0:1], s20, v17, v[2:3]
	v_sub_co_u32_e32 v2, vcc, v5, v7
	v_subb_co_u32_e32 v7, vcc, v6, v8, vcc
	v_subrev_co_u32_e32 v8, vcc, s20, v2
	v_subbrev_co_u32_e32 v9, vcc, 0, v7, vcc
	v_cmp_le_u32_e32 vcc, s20, v8
	v_cndmask_b32_e64 v8, 0, -1, vcc
	v_cmp_eq_u32_e32 vcc, 0, v9
	v_cndmask_b32_e32 v8, -1, v8, vcc
	v_add_co_u32_e32 v9, vcc, 2, v10
	v_addc_co_u32_e32 v18, vcc, 0, v17, vcc
	v_add_co_u32_e32 v19, vcc, 1, v10
	v_cmp_le_u32_e64 s[0:1], s20, v2
	v_addc_co_u32_e32 v20, vcc, 0, v17, vcc
	v_cndmask_b32_e64 v2, 0, -1, s[0:1]
	v_cmp_eq_u32_e64 s[0:1], 0, v7
	v_cmp_ne_u32_e32 vcc, 0, v8
	v_cndmask_b32_e64 v2, -1, v2, s[0:1]
	v_cndmask_b32_e32 v8, v20, v18, vcc
	v_cmp_ne_u32_e64 s[0:1], 0, v2
	v_cndmask_b32_e32 v2, v19, v9, vcc
	v_cndmask_b32_e64 v8, v17, v8, s[0:1]
	v_cndmask_b32_e64 v7, v10, v2, s[0:1]
.LBB11_5:                               ;   in Loop: Header=BB11_3 Depth=1
	s_andn2_saveexec_b64 s[0:1], s[10:11]
	s_cbranch_execz .LBB11_7
; %bb.6:                                ;   in Loop: Header=BB11_3 Depth=1
	v_mul_hi_u32 v2, v5, v15
	v_mul_lo_u32 v7, v2, s20
	v_add_u32_e32 v8, 1, v2
	v_sub_u32_e32 v7, v5, v7
	v_subrev_u32_e32 v9, s20, v7
	v_cmp_le_u32_e32 vcc, s20, v7
	v_cndmask_b32_e32 v7, v7, v9, vcc
	v_cndmask_b32_e32 v2, v2, v8, vcc
	v_add_u32_e32 v8, 1, v2
	v_cmp_le_u32_e32 vcc, s20, v7
	v_cndmask_b32_e32 v7, v2, v8, vcc
	v_mov_b32_e32 v8, v1
.LBB11_7:                               ;   in Loop: Header=BB11_3 Depth=1
	s_or_b64 exec, exec, s[0:1]
	v_add_co_u32_e32 v17, vcc, 32, v5
	v_addc_co_u32_e32 v2, vcc, 0, v6, vcc
	v_cmp_ne_u64_e32 vcc, 0, v[1:2]
                                        ; implicit-def: $vgpr9_vgpr10
	s_and_saveexec_b64 s[0:1], vcc
	s_xor_b64 s[10:11], exec, s[0:1]
	s_cbranch_execz .LBB11_9
; %bb.8:                                ;   in Loop: Header=BB11_3 Depth=1
	s_sub_u32 s9, 0, s20
	v_readfirstlane_b32 s0, v14
	v_readfirstlane_b32 s19, v13
	s_subb_u32 s17, 0, 0
	s_mul_hi_u32 s18, s9, s0
	s_mul_i32 s23, s9, s19
	s_mul_i32 s1, s17, s0
	s_add_i32 s18, s18, s23
	s_add_i32 s18, s18, s1
	s_mul_i32 s24, s9, s0
	s_mul_i32 s23, s0, s18
	s_mul_hi_u32 s25, s0, s24
	s_mul_hi_u32 s1, s0, s18
	s_add_u32 s23, s25, s23
	s_addc_u32 s1, 0, s1
	s_mul_hi_u32 s26, s19, s24
	s_mul_i32 s24, s19, s24
	s_add_u32 s23, s23, s24
	s_mul_hi_u32 s25, s19, s18
	s_addc_u32 s1, s1, s26
	s_addc_u32 s23, s25, 0
	s_mul_i32 s18, s19, s18
	s_add_u32 s1, s1, s18
	s_addc_u32 s18, 0, s23
	s_add_u32 s23, s0, s1
	s_cselect_b64 s[0:1], -1, 0
	s_cmp_lg_u64 s[0:1], 0
	s_addc_u32 s18, s19, s18
	s_mul_i32 s0, s9, s18
	s_mul_hi_u32 s1, s9, s23
	s_add_i32 s0, s1, s0
	s_mul_i32 s17, s17, s23
	s_add_i32 s0, s0, s17
	s_mul_i32 s9, s9, s23
	s_mul_hi_u32 s17, s18, s9
	s_mul_i32 s19, s18, s9
	s_mul_i32 s25, s23, s0
	s_mul_hi_u32 s9, s23, s9
	s_mul_hi_u32 s24, s23, s0
	s_add_u32 s9, s9, s25
	s_addc_u32 s24, 0, s24
	s_add_u32 s9, s9, s19
	s_mul_hi_u32 s1, s18, s0
	s_addc_u32 s9, s24, s17
	s_addc_u32 s1, s1, 0
	s_mul_i32 s0, s18, s0
	s_add_u32 s0, s9, s0
	s_addc_u32 s9, 0, s1
	s_add_u32 s17, s23, s0
	s_cselect_b64 s[0:1], -1, 0
	s_cmp_lg_u64 s[0:1], 0
	s_addc_u32 s9, s18, s9
	v_mad_u64_u32 v[9:10], s[0:1], v17, s9, 0
	v_mul_hi_u32 v6, v17, s17
	v_mad_u64_u32 v[18:19], s[0:1], v2, s9, 0
	v_add_co_u32_e32 v6, vcc, v6, v9
	v_addc_co_u32_e32 v20, vcc, 0, v10, vcc
	v_mad_u64_u32 v[9:10], s[0:1], v2, s17, 0
	v_add_co_u32_e32 v6, vcc, v6, v9
	v_addc_co_u32_e32 v6, vcc, v20, v10, vcc
	v_addc_co_u32_e32 v9, vcc, 0, v19, vcc
	v_add_co_u32_e32 v20, vcc, v6, v18
	v_addc_co_u32_e32 v21, vcc, 0, v9, vcc
	v_mad_u64_u32 v[9:10], s[0:1], s20, v20, 0
	v_mov_b32_e32 v6, v10
	v_mad_u64_u32 v[18:19], s[0:1], s20, v21, v[6:7]
	v_sub_co_u32_e32 v6, vcc, v17, v9
	v_subb_co_u32_e32 v9, vcc, v2, v18, vcc
	v_subrev_co_u32_e32 v10, vcc, s20, v6
	v_subbrev_co_u32_e32 v18, vcc, 0, v9, vcc
	v_cmp_le_u32_e32 vcc, s20, v10
	v_cndmask_b32_e64 v10, 0, -1, vcc
	v_cmp_eq_u32_e32 vcc, 0, v18
	v_cndmask_b32_e32 v10, -1, v10, vcc
	v_add_co_u32_e32 v18, vcc, 2, v20
	v_addc_co_u32_e32 v19, vcc, 0, v21, vcc
	v_add_co_u32_e32 v22, vcc, 1, v20
	v_cmp_le_u32_e64 s[0:1], s20, v6
	v_addc_co_u32_e32 v23, vcc, 0, v21, vcc
	v_cndmask_b32_e64 v6, 0, -1, s[0:1]
	v_cmp_eq_u32_e64 s[0:1], 0, v9
	v_cmp_ne_u32_e32 vcc, 0, v10
	v_cndmask_b32_e64 v6, -1, v6, s[0:1]
	v_cndmask_b32_e32 v10, v23, v19, vcc
	v_cmp_ne_u32_e64 s[0:1], 0, v6
	v_cndmask_b32_e32 v6, v22, v18, vcc
	v_cndmask_b32_e64 v10, v21, v10, s[0:1]
	v_cndmask_b32_e64 v9, v20, v6, s[0:1]
.LBB11_9:                               ;   in Loop: Header=BB11_3 Depth=1
	s_andn2_saveexec_b64 s[0:1], s[10:11]
	s_cbranch_execz .LBB11_11
; %bb.10:                               ;   in Loop: Header=BB11_3 Depth=1
	v_mul_hi_u32 v6, v17, v15
	v_mul_lo_u32 v9, v6, s20
	v_add_u32_e32 v10, 1, v6
	v_sub_u32_e32 v9, v17, v9
	v_subrev_u32_e32 v18, s20, v9
	v_cmp_le_u32_e32 vcc, s20, v9
	v_cndmask_b32_e32 v9, v9, v18, vcc
	v_cndmask_b32_e32 v6, v6, v10, vcc
	v_add_u32_e32 v10, 1, v6
	v_cmp_le_u32_e32 vcc, s20, v9
	v_cndmask_b32_e32 v9, v6, v10, vcc
	v_mov_b32_e32 v10, v1
.LBB11_11:                              ;   in Loop: Header=BB11_3 Depth=1
	s_or_b64 exec, exec, s[0:1]
	s_ashr_i32 s9, s8, 31
	s_lshl_b64 s[10:11], s[8:9], 5
	s_mov_b32 s17, s11
	s_cmp_lg_u64 s[16:17], 0
	s_cbranch_scc0 .LBB11_30
; %bb.12:                               ;   in Loop: Header=BB11_3 Depth=1
	s_sub_u32 s9, 0, s20
	v_readfirstlane_b32 s0, v14
	v_readfirstlane_b32 s19, v13
	s_subb_u32 s17, 0, 0
	s_mul_hi_u32 s18, s9, s0
	s_mul_i32 s23, s9, s19
	s_mul_i32 s1, s17, s0
	s_add_i32 s18, s18, s23
	s_add_i32 s18, s18, s1
	s_mul_i32 s24, s9, s0
	s_mul_i32 s23, s0, s18
	s_mul_hi_u32 s25, s0, s24
	s_mul_hi_u32 s1, s0, s18
	s_add_u32 s23, s25, s23
	s_addc_u32 s1, 0, s1
	s_mul_hi_u32 s26, s19, s24
	s_mul_i32 s24, s19, s24
	s_add_u32 s23, s23, s24
	s_mul_hi_u32 s25, s19, s18
	s_addc_u32 s1, s1, s26
	s_addc_u32 s23, s25, 0
	s_mul_i32 s18, s19, s18
	s_add_u32 s1, s1, s18
	s_addc_u32 s18, 0, s23
	s_add_u32 s23, s0, s1
	s_cselect_b64 s[0:1], -1, 0
	s_cmp_lg_u64 s[0:1], 0
	s_addc_u32 s18, s19, s18
	s_mul_i32 s0, s9, s18
	s_mul_hi_u32 s1, s9, s23
	s_add_i32 s0, s1, s0
	s_mul_i32 s17, s17, s23
	s_add_i32 s0, s0, s17
	s_mul_i32 s9, s9, s23
	s_mul_hi_u32 s17, s18, s9
	s_mul_i32 s19, s18, s9
	s_mul_i32 s25, s23, s0
	s_mul_hi_u32 s9, s23, s9
	s_mul_hi_u32 s24, s23, s0
	s_add_u32 s9, s9, s25
	s_addc_u32 s24, 0, s24
	s_add_u32 s9, s9, s19
	s_mul_hi_u32 s1, s18, s0
	s_addc_u32 s9, s24, s17
	s_addc_u32 s1, s1, 0
	s_mul_i32 s0, s18, s0
	s_add_u32 s0, s9, s0
	s_addc_u32 s9, 0, s1
	s_add_u32 s17, s23, s0
	s_cselect_b64 s[0:1], -1, 0
	s_cmp_lg_u64 s[0:1], 0
	s_addc_u32 s0, s18, s9
	s_mul_i32 s9, s10, s0
	s_mul_hi_u32 s18, s10, s17
	s_mul_hi_u32 s1, s10, s0
	s_add_u32 s9, s18, s9
	s_addc_u32 s1, 0, s1
	s_mul_hi_u32 s19, s11, s17
	s_mul_i32 s17, s11, s17
	s_add_u32 s9, s9, s17
	s_mul_hi_u32 s18, s11, s0
	s_addc_u32 s1, s1, s19
	s_addc_u32 s9, s18, 0
	s_mul_i32 s0, s11, s0
	s_add_u32 s17, s1, s0
	s_addc_u32 s9, 0, s9
	s_add_u32 s18, s17, 1
	s_addc_u32 s19, s9, 0
	s_add_u32 s23, s17, 2
	s_mul_i32 s0, s20, s9
	s_mul_hi_u32 s1, s20, s17
	s_addc_u32 s24, s9, 0
	s_add_i32 s25, s1, s0
	s_mul_i32 s0, s20, s17
	s_sub_u32 s26, s10, s0
	s_cselect_b64 s[0:1], -1, 0
	s_cmp_lg_u64 s[0:1], 0
	s_subb_u32 s11, s11, s25
	s_sub_u32 s25, s26, s20
	s_cselect_b64 s[0:1], -1, 0
	s_cmp_lg_u64 s[0:1], 0
	s_subb_u32 s0, s11, 0
	s_cmp_ge_u32 s25, s20
	s_cselect_b32 s1, -1, 0
	s_cmp_eq_u32 s0, 0
	s_cselect_b32 s0, s1, -1
	s_cmp_lg_u32 s0, 0
	s_cselect_b32 s0, s23, s18
	s_cselect_b32 s1, s24, s19
	s_cmp_ge_u32 s26, s20
	s_cselect_b32 s18, -1, 0
	s_cmp_eq_u32 s11, 0
	s_cselect_b32 s11, s18, -1
	s_cmp_lg_u32 s11, 0
	s_cselect_b32 s1, s1, s9
	s_cselect_b32 s0, s0, s17
	s_cbranch_execnz .LBB11_14
.LBB11_13:                              ;   in Loop: Header=BB11_3 Depth=1
	v_readfirstlane_b32 s0, v12
	s_mul_i32 s1, s22, s0
	s_mul_hi_u32 s1, s0, s1
	s_add_i32 s0, s0, s1
	s_mul_hi_u32 s0, s10, s0
	s_mul_i32 s9, s0, s20
	s_sub_i32 s9, s10, s9
	s_add_i32 s1, s0, 1
	s_sub_i32 s10, s9, s20
	s_cmp_ge_u32 s9, s20
	s_cselect_b32 s0, s1, s0
	s_cselect_b32 s9, s10, s9
	s_add_i32 s1, s0, 1
	s_cmp_ge_u32 s9, s20
	s_cselect_b32 s0, s1, s0
	s_mov_b32 s1, s16
.LBB11_14:                              ;   in Loop: Header=BB11_3 Depth=1
	s_addk_i32 s8, 0x100
	s_ashr_i32 s9, s8, 31
	s_lshl_b64 s[8:9], s[8:9], 5
	s_mov_b32 s17, s9
	s_cmp_lg_u64 s[16:17], 0
	s_cbranch_scc0 .LBB11_31
; %bb.15:                               ;   in Loop: Header=BB11_3 Depth=1
	s_sub_u32 s17, 0, s20
	v_readfirstlane_b32 s10, v14
	v_readfirstlane_b32 s23, v13
	s_subb_u32 s18, 0, 0
	s_mul_hi_u32 s19, s17, s10
	s_mul_i32 s24, s17, s23
	s_mul_i32 s11, s18, s10
	s_add_i32 s19, s19, s24
	s_add_i32 s19, s19, s11
	s_mul_i32 s25, s17, s10
	s_mul_i32 s24, s10, s19
	s_mul_hi_u32 s26, s10, s25
	s_mul_hi_u32 s11, s10, s19
	s_add_u32 s24, s26, s24
	s_addc_u32 s11, 0, s11
	s_mul_hi_u32 s27, s23, s25
	s_mul_i32 s25, s23, s25
	s_add_u32 s24, s24, s25
	s_mul_hi_u32 s26, s23, s19
	s_addc_u32 s11, s11, s27
	s_addc_u32 s24, s26, 0
	s_mul_i32 s19, s23, s19
	s_add_u32 s11, s11, s19
	s_addc_u32 s19, 0, s24
	s_add_u32 s24, s10, s11
	s_cselect_b64 s[10:11], -1, 0
	s_cmp_lg_u64 s[10:11], 0
	s_addc_u32 s19, s23, s19
	s_mul_i32 s10, s17, s19
	s_mul_hi_u32 s11, s17, s24
	s_add_i32 s10, s11, s10
	s_mul_i32 s18, s18, s24
	s_add_i32 s10, s10, s18
	s_mul_i32 s17, s17, s24
	s_mul_hi_u32 s18, s19, s17
	s_mul_i32 s23, s19, s17
	s_mul_i32 s26, s24, s10
	s_mul_hi_u32 s17, s24, s17
	s_mul_hi_u32 s25, s24, s10
	s_add_u32 s17, s17, s26
	s_addc_u32 s25, 0, s25
	s_add_u32 s17, s17, s23
	s_mul_hi_u32 s11, s19, s10
	s_addc_u32 s17, s25, s18
	s_addc_u32 s11, s11, 0
	s_mul_i32 s10, s19, s10
	s_add_u32 s10, s17, s10
	s_addc_u32 s17, 0, s11
	s_add_u32 s18, s24, s10
	s_cselect_b64 s[10:11], -1, 0
	s_cmp_lg_u64 s[10:11], 0
	s_addc_u32 s10, s19, s17
	s_mul_i32 s17, s8, s10
	s_mul_hi_u32 s19, s8, s18
	s_mul_hi_u32 s11, s8, s10
	s_add_u32 s17, s19, s17
	s_addc_u32 s11, 0, s11
	s_mul_hi_u32 s23, s9, s18
	s_mul_i32 s18, s9, s18
	s_add_u32 s17, s17, s18
	s_mul_hi_u32 s19, s9, s10
	s_addc_u32 s11, s11, s23
	s_addc_u32 s17, s19, 0
	s_mul_i32 s10, s9, s10
	s_add_u32 s18, s11, s10
	s_addc_u32 s17, 0, s17
	s_add_u32 s19, s18, 1
	s_addc_u32 s23, s17, 0
	s_add_u32 s24, s18, 2
	s_mul_i32 s10, s20, s17
	s_mul_hi_u32 s11, s20, s18
	s_addc_u32 s25, s17, 0
	s_add_i32 s26, s11, s10
	s_mul_i32 s10, s20, s18
	s_sub_u32 s27, s8, s10
	s_cselect_b64 s[10:11], -1, 0
	s_cmp_lg_u64 s[10:11], 0
	s_subb_u32 s26, s9, s26
	s_sub_u32 s28, s27, s20
	s_cselect_b64 s[10:11], -1, 0
	s_cmp_lg_u64 s[10:11], 0
	s_subb_u32 s10, s26, 0
	s_cmp_ge_u32 s28, s20
	s_cselect_b32 s11, -1, 0
	s_cmp_eq_u32 s10, 0
	s_cselect_b32 s10, s11, -1
	s_cmp_lg_u32 s10, 0
	s_cselect_b32 s10, s24, s19
	s_cselect_b32 s11, s25, s23
	s_cmp_ge_u32 s27, s20
	s_cselect_b32 s19, -1, 0
	s_cmp_eq_u32 s26, 0
	s_cselect_b32 s19, s19, -1
	s_cmp_lg_u32 s19, 0
	s_cselect_b32 s11, s11, s17
	s_cselect_b32 s10, s10, s18
	s_cbranch_execnz .LBB11_17
.LBB11_16:                              ;   in Loop: Header=BB11_3 Depth=1
	v_readfirstlane_b32 s10, v12
	s_mul_i32 s11, s22, s10
	s_mul_hi_u32 s11, s10, s11
	s_add_i32 s10, s10, s11
	s_mul_hi_u32 s10, s8, s10
	s_mul_i32 s17, s10, s20
	s_sub_i32 s17, s8, s17
	s_add_i32 s11, s10, 1
	s_sub_i32 s18, s17, s20
	s_cmp_ge_u32 s17, s20
	s_cselect_b32 s10, s11, s10
	s_cselect_b32 s17, s18, s17
	s_add_i32 s11, s10, 1
	s_cmp_ge_u32 s17, s20
	s_cselect_b32 s10, s11, s10
	s_mov_b32 s11, s16
.LBB11_17:                              ;   in Loop: Header=BB11_3 Depth=1
	s_and_b32 s17, s0, 0xffffff00
	v_mov_b32_e32 v18, s17
	v_mov_b32_e32 v19, s1
	v_cmp_lt_u64_e32 vcc, s[4:5], v[18:19]
	v_mov_b32_e32 v18, s4
	s_and_b64 s[0:1], vcc, exec
	s_mul_i32 s0, s11, s20
	s_mul_hi_u32 s1, s10, s20
	s_cselect_b32 s17, s4, s17
	s_add_i32 s1, s1, s0
	s_mul_i32 s0, s10, s20
	s_sub_u32 s0, s8, s0
	s_subb_u32 s1, s9, s1
	v_cmp_lt_u64_e32 vcc, s[4:5], v[7:8]
	s_cmp_lg_u64 s[0:1], 0
	s_cselect_b64 s[0:1], -1, 0
	v_cndmask_b32_e32 v6, v7, v18, vcc
	v_cndmask_b32_e64 v7, 0, 1, s[0:1]
	v_mov_b32_e32 v8, s11
	v_add_co_u32_e32 v19, vcc, s10, v7
	v_addc_co_u32_e32 v20, vcc, 0, v8, vcc
	v_and_b32_e32 v7, 0xff, v19
	v_mov_b32_e32 v8, v1
	v_cmp_eq_u64_e32 vcc, 0, v[7:8]
	v_cndmask_b32_e64 v7, v16, 0, vcc
	v_add_co_u32_e32 v7, vcc, v7, v19
	v_addc_co_u32_e32 v8, vcc, 0, v20, vcc
	v_and_b32_e32 v7, 0xffffff00, v7
	v_cmp_lt_u64_e32 vcc, s[4:5], v[7:8]
	v_cndmask_b32_e32 v19, v7, v18, vcc
	v_cmp_ge_i32_e32 vcc, s17, v19
	v_mov_b32_e32 v18, 0
	s_cbranch_vccnz .LBB11_28
; %bb.18:                               ;   in Loop: Header=BB11_3 Depth=1
	v_mad_u64_u32 v[7:8], s[0:1], v9, s20, 0
	v_mov_b32_e32 v18, 0
	v_mad_u64_u32 v[20:21], s[0:1], v10, s20, v[8:9]
	v_sub_co_u32_e32 v7, vcc, v17, v7
	v_subb_co_u32_e32 v8, vcc, v2, v20, vcc
	v_cmp_ne_u64_e32 vcc, 0, v[7:8]
	v_cndmask_b32_e64 v2, 0, 1, vcc
	v_add_co_u32_e32 v7, vcc, v9, v2
	v_addc_co_u32_e32 v8, vcc, 0, v10, vcc
	v_cmp_lt_u64_e32 vcc, s[4:5], v[7:8]
	v_mov_b32_e32 v2, s4
	v_cndmask_b32_e32 v2, v7, v2, vcc
.LBB11_19:                              ;   Parent Loop BB11_3 Depth=1
                                        ; =>  This Loop Header: Depth=2
                                        ;       Child Loop BB11_23 Depth 3
	v_add_u32_e32 v7, s17, v0
	v_ashrrev_i32_e32 v8, 31, v7
	v_cmp_gt_u64_e32 vcc, s[2:3], v[7:8]
	s_waitcnt vmcnt(0) lgkmcnt(0)
	s_barrier
	s_and_saveexec_b64 s[0:1], vcc
	s_cbranch_execz .LBB11_21
; %bb.20:                               ;   in Loop: Header=BB11_19 Depth=2
	v_lshlrev_b64 v[7:8], 1, v[7:8]
	v_mov_b32_e32 v9, s15
	v_add_co_u32_e32 v7, vcc, s14, v7
	v_addc_co_u32_e32 v8, vcc, v9, v8, vcc
	global_load_ushort v7, v[7:8], off
	v_lshlrev_b32_e32 v8, 1, v0
	s_waitcnt vmcnt(0)
	v_sub_u16_e32 v7, v7, v11
	ds_write_b16 v8, v7
.LBB11_21:                              ;   in Loop: Header=BB11_19 Depth=2
	s_or_b64 exec, exec, s[0:1]
	s_add_i32 s10, s17, 0x100
	v_max_i32_e32 v7, s17, v6
	v_min_i32_e32 v8, s10, v2
	v_cmp_lt_i32_e32 vcc, v7, v8
	s_waitcnt lgkmcnt(0)
	s_barrier
	s_and_saveexec_b64 s[0:1], vcc
	s_cbranch_execz .LBB11_25
; %bb.22:                               ;   in Loop: Header=BB11_19 Depth=2
	s_mov_b64 s[8:9], 0
.LBB11_23:                              ;   Parent Loop BB11_3 Depth=1
                                        ;     Parent Loop BB11_19 Depth=2
                                        ; =>    This Inner Loop Header: Depth=3
	v_subrev_u32_e32 v9, s17, v7
	v_mul_lo_u32 v10, v7, s20
	v_lshlrev_b32_e32 v9, 1, v9
	ds_read_u16 v9, v9
	v_add_u32_e32 v7, 1, v7
	v_sub_u32_e32 v10, v10, v5
	v_cmp_ge_i32_e32 vcc, v7, v8
	v_sub_u32_e32 v17, 0, v10
	s_or_b64 s[8:9], vcc, s[8:9]
	s_waitcnt lgkmcnt(0)
	v_lshlrev_b32_e32 v20, v10, v9
	v_lshrrev_b32_e32 v9, v17, v9
	v_cmp_lt_i32_e32 vcc, 0, v10
	v_cndmask_b32_e32 v9, v9, v20, vcc
	v_or_b32_e32 v18, v9, v18
	s_andn2_b64 exec, exec, s[8:9]
	s_cbranch_execnz .LBB11_23
; %bb.24:                               ;   in Loop: Header=BB11_19 Depth=2
	s_or_b64 exec, exec, s[8:9]
.LBB11_25:                              ;   in Loop: Header=BB11_19 Depth=2
	s_or_b64 exec, exec, s[0:1]
; %bb.26:                               ;   in Loop: Header=BB11_19 Depth=2
	v_cmp_lt_i32_e32 vcc, s10, v19
	s_cbranch_vccz .LBB11_28
; %bb.27:                               ;   in Loop: Header=BB11_19 Depth=2
	s_mov_b32 s17, s10
	s_branch .LBB11_19
.LBB11_28:                              ;   in Loop: Header=BB11_3 Depth=1
	v_ashrrev_i32_e32 v7, 31, v6
	v_cmp_gt_u64_e32 vcc, s[2:3], v[6:7]
	s_and_saveexec_b64 s[0:1], vcc
	s_cbranch_execz .LBB11_2
; %bb.29:                               ;   in Loop: Header=BB11_3 Depth=1
	v_lshlrev_b64 v[2:3], 2, v[3:4]
	v_mov_b32_e32 v4, s13
	v_add_co_u32_e32 v2, vcc, s12, v2
	v_addc_co_u32_e32 v3, vcc, v4, v3, vcc
	global_store_dword v[2:3], v18, off
	s_branch .LBB11_2
.LBB11_30:                              ;   in Loop: Header=BB11_3 Depth=1
                                        ; implicit-def: $sgpr0_sgpr1
	s_branch .LBB11_13
.LBB11_31:                              ;   in Loop: Header=BB11_3 Depth=1
                                        ; implicit-def: $sgpr10_sgpr11
	s_branch .LBB11_16
.LBB11_32:
	s_endpgm
	.section	.rodata,"a",@progbits
	.p2align	6, 0x0
	.amdhsa_kernel _Z13bitPackKernelItjEvPKhPKT_PT0_S4_PKm
		.amdhsa_group_segment_fixed_size 512
		.amdhsa_private_segment_fixed_size 0
		.amdhsa_kernarg_size 296
		.amdhsa_user_sgpr_count 6
		.amdhsa_user_sgpr_private_segment_buffer 1
		.amdhsa_user_sgpr_dispatch_ptr 0
		.amdhsa_user_sgpr_queue_ptr 0
		.amdhsa_user_sgpr_kernarg_segment_ptr 1
		.amdhsa_user_sgpr_dispatch_id 0
		.amdhsa_user_sgpr_flat_scratch_init 0
		.amdhsa_user_sgpr_private_segment_size 0
		.amdhsa_uses_dynamic_stack 0
		.amdhsa_system_sgpr_private_segment_wavefront_offset 0
		.amdhsa_system_sgpr_workgroup_id_x 1
		.amdhsa_system_sgpr_workgroup_id_y 0
		.amdhsa_system_sgpr_workgroup_id_z 0
		.amdhsa_system_sgpr_workgroup_info 0
		.amdhsa_system_vgpr_workitem_id 0
		.amdhsa_next_free_vgpr 24
		.amdhsa_next_free_sgpr 29
		.amdhsa_reserve_vcc 1
		.amdhsa_reserve_flat_scratch 0
		.amdhsa_float_round_mode_32 0
		.amdhsa_float_round_mode_16_64 0
		.amdhsa_float_denorm_mode_32 3
		.amdhsa_float_denorm_mode_16_64 3
		.amdhsa_dx10_clamp 1
		.amdhsa_ieee_mode 1
		.amdhsa_fp16_overflow 0
		.amdhsa_exception_fp_ieee_invalid_op 0
		.amdhsa_exception_fp_denorm_src 0
		.amdhsa_exception_fp_ieee_div_zero 0
		.amdhsa_exception_fp_ieee_overflow 0
		.amdhsa_exception_fp_ieee_underflow 0
		.amdhsa_exception_fp_ieee_inexact 0
		.amdhsa_exception_int_div_zero 0
	.end_amdhsa_kernel
	.section	.text._Z13bitPackKernelItjEvPKhPKT_PT0_S4_PKm,"axG",@progbits,_Z13bitPackKernelItjEvPKhPKT_PT0_S4_PKm,comdat
.Lfunc_end11:
	.size	_Z13bitPackKernelItjEvPKhPKT_PT0_S4_PKm, .Lfunc_end11-_Z13bitPackKernelItjEvPKhPKT_PT0_S4_PKm
                                        ; -- End function
	.set _Z13bitPackKernelItjEvPKhPKT_PT0_S4_PKm.num_vgpr, 24
	.set _Z13bitPackKernelItjEvPKhPKT_PT0_S4_PKm.num_agpr, 0
	.set _Z13bitPackKernelItjEvPKhPKT_PT0_S4_PKm.numbered_sgpr, 29
	.set _Z13bitPackKernelItjEvPKhPKT_PT0_S4_PKm.num_named_barrier, 0
	.set _Z13bitPackKernelItjEvPKhPKT_PT0_S4_PKm.private_seg_size, 0
	.set _Z13bitPackKernelItjEvPKhPKT_PT0_S4_PKm.uses_vcc, 1
	.set _Z13bitPackKernelItjEvPKhPKT_PT0_S4_PKm.uses_flat_scratch, 0
	.set _Z13bitPackKernelItjEvPKhPKT_PT0_S4_PKm.has_dyn_sized_stack, 0
	.set _Z13bitPackKernelItjEvPKhPKT_PT0_S4_PKm.has_recursion, 0
	.set _Z13bitPackKernelItjEvPKhPKT_PT0_S4_PKm.has_indirect_call, 0
	.section	.AMDGPU.csdata,"",@progbits
; Kernel info:
; codeLenInByte = 2712
; TotalNumSgprs: 33
; NumVgprs: 24
; ScratchSize: 0
; MemoryBound: 0
; FloatMode: 240
; IeeeMode: 1
; LDSByteSize: 512 bytes/workgroup (compile time only)
; SGPRBlocks: 4
; VGPRBlocks: 5
; NumSGPRsForWavesPerEU: 33
; NumVGPRsForWavesPerEU: 24
; Occupancy: 10
; WaveLimiterHint : 0
; COMPUTE_PGM_RSRC2:SCRATCH_EN: 0
; COMPUTE_PGM_RSRC2:USER_SGPR: 6
; COMPUTE_PGM_RSRC2:TRAP_HANDLER: 0
; COMPUTE_PGM_RSRC2:TGID_X_EN: 1
; COMPUTE_PGM_RSRC2:TGID_Y_EN: 0
; COMPUTE_PGM_RSRC2:TGID_Z_EN: 0
; COMPUTE_PGM_RSRC2:TIDIG_COMP_CNT: 0
	.section	.text._Z23bitPackConfigScanKernelIiiEvPT_S1_PKT0_PKm,"axG",@progbits,_Z23bitPackConfigScanKernelIiiEvPT_S1_PKT0_PKm,comdat
	.protected	_Z23bitPackConfigScanKernelIiiEvPT_S1_PKT0_PKm ; -- Begin function _Z23bitPackConfigScanKernelIiiEvPT_S1_PKT0_PKm
	.globl	_Z23bitPackConfigScanKernelIiiEvPT_S1_PKT0_PKm
	.p2align	8
	.type	_Z23bitPackConfigScanKernelIiiEvPT_S1_PKT0_PKm,@function
_Z23bitPackConfigScanKernelIiiEvPT_S1_PKT0_PKm: ; @_Z23bitPackConfigScanKernelIiiEvPT_S1_PKT0_PKm
; %bb.0:
	s_load_dwordx8 s[8:15], s[4:5], 0x0
	s_waitcnt lgkmcnt(0)
	s_load_dwordx2 s[0:1], s[14:15], 0x0
	s_mov_b32 s15, 0
	s_waitcnt lgkmcnt(0)
	s_lshr_b64 s[2:3], s[0:1], 8
	s_and_b32 s14, s0, 0xff
	s_cmp_lg_u64 s[14:15], 0
	s_cselect_b64 s[14:15], -1, 0
	s_cmp_lg_u64 s[14:15], 0
	s_addc_u32 s14, s2, 0
	s_cmp_ge_u32 s6, s14
	s_cbranch_scc1 .LBB12_82
; %bb.1:
	s_cmp_lt_i32 s6, s14
	s_cbranch_scc1 .LBB12_83
; %bb.2:
	s_cbranch_execz .LBB12_84
; %bb.3:
	v_mov_b32_e32 v5, 0
	s_mov_b32 s7, 0
	v_mov_b32_e32 v4, 0
.LBB12_4:
	v_lshlrev_b32_e32 v3, 2, v0
	s_movk_i32 s0, 0x7f
	v_cmp_lt_u32_e32 vcc, s0, v0
	v_add_u32_e32 v1, 0xfffffe00, v3
	ds_write2st64_b32 v3, v4, v5 offset1:4
	s_waitcnt lgkmcnt(0)
	s_barrier
	s_and_saveexec_b64 s[0:1], vcc
	s_xor_b64 s[2:3], exec, s[0:1]
	s_cbranch_execz .LBB12_8
; %bb.5:
	v_cmp_gt_i32_e64 s[0:1], s7, v0
	s_and_saveexec_b64 s[4:5], s[0:1]
	s_cbranch_execz .LBB12_7
; %bb.6:
	ds_read_b32 v2, v1
	ds_read_b32 v4, v3
	s_waitcnt lgkmcnt(0)
	v_max_i32_e32 v2, v2, v4
	ds_write_b32 v1, v2
.LBB12_7:
	s_or_b64 exec, exec, s[4:5]
.LBB12_8:
	s_or_saveexec_b64 s[2:3], s[2:3]
	v_add_u32_e32 v2, 0x400, v3
	s_xor_b64 exec, exec, s[2:3]
	s_cbranch_execz .LBB12_12
; %bb.9:
	v_or_b32_e32 v4, 0x80, v0
	v_cmp_gt_i32_e64 s[0:1], s7, v4
	s_and_saveexec_b64 s[4:5], s[0:1]
	s_cbranch_execz .LBB12_11
; %bb.10:
	ds_read2st64_b32 v[4:5], v2 offset1:2
	s_waitcnt lgkmcnt(0)
	v_min_i32_e32 v4, v4, v5
	ds_write_b32 v2, v4
.LBB12_11:
	s_or_b64 exec, exec, s[4:5]
.LBB12_12:
	s_or_b64 exec, exec, s[2:3]
	s_waitcnt lgkmcnt(0)
	s_barrier
	s_and_saveexec_b64 s[0:1], vcc
	s_xor_b64 s[2:3], exec, s[0:1]
	s_cbranch_execz .LBB12_17
; %bb.13:
	s_movk_i32 s0, 0xc0
	v_cmp_gt_u32_e64 s[0:1], s0, v0
	s_and_saveexec_b64 s[4:5], s[0:1]
	s_cbranch_execz .LBB12_16
; %bb.14:
	v_subrev_u32_e32 v4, 64, v0
	v_cmp_gt_i32_e64 s[0:1], s7, v4
	s_and_b64 exec, exec, s[0:1]
	s_cbranch_execz .LBB12_16
; %bb.15:
	v_add_u32_e32 v4, 0xffffff00, v3
	ds_read_b32 v5, v1
	ds_read_b32 v4, v4
	s_waitcnt lgkmcnt(0)
	v_max_i32_e32 v4, v5, v4
	ds_write_b32 v1, v4
.LBB12_16:
	s_or_b64 exec, exec, s[4:5]
.LBB12_17:
	s_andn2_saveexec_b64 s[2:3], s[2:3]
	s_cbranch_execz .LBB12_22
; %bb.18:
	v_cmp_gt_u32_e64 s[0:1], 64, v0
	s_and_saveexec_b64 s[4:5], s[0:1]
	s_cbranch_execz .LBB12_21
; %bb.19:
	v_or_b32_e32 v4, 64, v0
	v_cmp_gt_i32_e64 s[0:1], s7, v4
	s_and_b64 exec, exec, s[0:1]
	s_cbranch_execz .LBB12_21
; %bb.20:
	ds_read2st64_b32 v[4:5], v2 offset1:1
	s_waitcnt lgkmcnt(0)
	v_min_i32_e32 v4, v4, v5
	ds_write_b32 v2, v4
.LBB12_21:
	s_or_b64 exec, exec, s[4:5]
.LBB12_22:
	s_or_b64 exec, exec, s[2:3]
	s_waitcnt lgkmcnt(0)
	s_barrier
	s_and_saveexec_b64 s[0:1], vcc
	s_xor_b64 s[2:3], exec, s[0:1]
	s_cbranch_execz .LBB12_27
; %bb.23:
	s_movk_i32 s0, 0xa0
	v_cmp_gt_u32_e64 s[0:1], s0, v0
	s_and_saveexec_b64 s[4:5], s[0:1]
	s_cbranch_execz .LBB12_26
; %bb.24:
	v_add_u32_e32 v4, 0xffffffa0, v0
	v_cmp_gt_i32_e64 s[0:1], s7, v4
	s_and_b64 exec, exec, s[0:1]
	s_cbranch_execz .LBB12_26
; %bb.25:
	v_add_u32_e32 v4, 0xfffffe80, v3
	ds_read_b32 v5, v1
	ds_read_b32 v4, v4
	s_waitcnt lgkmcnt(0)
	v_max_i32_e32 v4, v5, v4
	ds_write_b32 v1, v4
.LBB12_26:
	s_or_b64 exec, exec, s[4:5]
.LBB12_27:
	s_andn2_saveexec_b64 s[2:3], s[2:3]
	s_cbranch_execz .LBB12_32
; %bb.28:
	v_cmp_gt_u32_e64 s[0:1], 32, v0
	s_and_saveexec_b64 s[4:5], s[0:1]
	s_cbranch_execz .LBB12_31
; %bb.29:
	v_or_b32_e32 v4, 32, v0
	v_cmp_gt_i32_e64 s[0:1], s7, v4
	s_and_b64 exec, exec, s[0:1]
	s_cbranch_execz .LBB12_31
; %bb.30:
	ds_read2_b32 v[4:5], v2 offset1:32
	s_waitcnt lgkmcnt(0)
	v_min_i32_e32 v4, v4, v5
	ds_write_b32 v2, v4
.LBB12_31:
	s_or_b64 exec, exec, s[4:5]
.LBB12_32:
	s_or_b64 exec, exec, s[2:3]
	s_waitcnt lgkmcnt(0)
	s_barrier
	s_and_saveexec_b64 s[0:1], vcc
	s_xor_b64 s[2:3], exec, s[0:1]
	s_cbranch_execz .LBB12_37
; %bb.33:
	s_movk_i32 s0, 0x90
	v_cmp_gt_u32_e64 s[0:1], s0, v0
	s_and_saveexec_b64 s[4:5], s[0:1]
	s_cbranch_execz .LBB12_36
; %bb.34:
	v_add_u32_e32 v4, 0xffffff90, v0
	v_cmp_gt_i32_e64 s[0:1], s7, v4
	s_and_b64 exec, exec, s[0:1]
	s_cbranch_execz .LBB12_36
; %bb.35:
	v_add_u32_e32 v4, 0xfffffe40, v3
	ds_read_b32 v5, v1
	ds_read_b32 v4, v4
	s_waitcnt lgkmcnt(0)
	v_max_i32_e32 v4, v5, v4
	ds_write_b32 v1, v4
.LBB12_36:
	s_or_b64 exec, exec, s[4:5]
.LBB12_37:
	s_andn2_saveexec_b64 s[2:3], s[2:3]
	s_cbranch_execz .LBB12_42
; %bb.38:
	v_cmp_gt_u32_e64 s[0:1], 16, v0
	s_and_saveexec_b64 s[4:5], s[0:1]
	s_cbranch_execz .LBB12_41
; %bb.39:
	v_or_b32_e32 v4, 16, v0
	v_cmp_gt_i32_e64 s[0:1], s7, v4
	s_and_b64 exec, exec, s[0:1]
	s_cbranch_execz .LBB12_41
; %bb.40:
	ds_read2_b32 v[4:5], v2 offset1:16
	s_waitcnt lgkmcnt(0)
	v_min_i32_e32 v4, v4, v5
	ds_write_b32 v2, v4
.LBB12_41:
	s_or_b64 exec, exec, s[4:5]
.LBB12_42:
	;; [unrolled: 45-line block ×5, first 2 shown]
	s_or_b64 exec, exec, s[2:3]
	s_cmp_gt_i32 s7, 1
	s_cselect_b64 s[0:1], -1, 0
	s_waitcnt lgkmcnt(0)
	s_barrier
	s_and_saveexec_b64 s[2:3], vcc
	s_xor_b64 s[2:3], exec, s[2:3]
	s_cbranch_execz .LBB12_76
; %bb.73:
	s_movk_i32 s4, 0x80
	v_cmp_eq_u32_e32 vcc, s4, v0
	s_and_b64 s[12:13], vcc, s[0:1]
	s_and_saveexec_b64 s[4:5], s[12:13]
	s_cbranch_execz .LBB12_75
; %bb.74:
	v_mov_b32_e32 v2, 0
	ds_read_b32 v3, v1
	ds_read_b32 v2, v2 offset:4
	s_waitcnt lgkmcnt(0)
	v_max_i32_e32 v2, v3, v2
	ds_write_b32 v1, v2
.LBB12_75:
	s_or_b64 exec, exec, s[4:5]
                                        ; implicit-def: $vgpr2
.LBB12_76:
	s_andn2_saveexec_b64 s[2:3], s[2:3]
	s_cbranch_execz .LBB12_80
; %bb.77:
	v_cmp_eq_u32_e32 vcc, 0, v0
	s_and_b64 s[4:5], vcc, s[0:1]
	s_and_saveexec_b64 s[0:1], s[4:5]
	s_cbranch_execz .LBB12_79
; %bb.78:
	v_mov_b32_e32 v1, 0
	ds_read_b32 v3, v2
	ds_read_b32 v1, v1 offset:1028
	s_waitcnt lgkmcnt(0)
	v_min_i32_e32 v1, v3, v1
	ds_write_b32 v2, v1
.LBB12_79:
	s_or_b64 exec, exec, s[0:1]
.LBB12_80:
	s_or_b64 exec, exec, s[2:3]
	s_mov_b32 s7, 0
	v_cmp_eq_u32_e32 vcc, 0, v0
	s_waitcnt lgkmcnt(0)
	s_barrier
	s_and_saveexec_b64 s[0:1], vcc
	s_cbranch_execz .LBB12_82
; %bb.81:
	v_mov_b32_e32 v2, 0
	s_lshl_b64 s[0:1], s[6:7], 2
	ds_read2st64_b32 v[0:1], v2 offset1:4
	s_add_u32 s2, s10, s0
	s_addc_u32 s3, s11, s1
	s_add_u32 s0, s8, s0
	s_addc_u32 s1, s9, s1
	s_waitcnt lgkmcnt(0)
	global_store_dword v2, v1, s[0:1]
	global_store_dword v2, v0, s[2:3]
.LBB12_82:
	s_endpgm
.LBB12_83:
.LBB12_84:
	s_load_dword s2, s[4:5], 0x20
	s_lshl_b32 s1, s6, 8
	v_mov_b32_e32 v2, 0
	s_mov_b32 s3, 0
	v_add_u32_e32 v1, s1, v0
	s_sub_i32 s4, s0, s1
	s_waitcnt lgkmcnt(0)
	s_lshl_b32 s5, s2, 8
	v_mov_b32_e32 v4, 0
	v_mov_b32_e32 v5, v2
	s_mov_b32 s7, 0
	s_branch .LBB12_86
.LBB12_85:                              ;   in Loop: Header=BB12_86 Depth=1
	s_or_b64 exec, exec, s[0:1]
	s_add_i32 s3, s3, s2
	s_max_i32 s7, s7, s15
	s_add_i32 s0, s6, s3
	s_sub_i32 s4, s4, s5
	s_cmp_ge_i32 s0, s14
	v_add_u32_e32 v1, s5, v1
	s_cbranch_scc1 .LBB12_4
.LBB12_86:                              ; =>This Inner Loop Header: Depth=1
	s_min_i32 s15, s4, 0x100
	v_cmp_gt_u32_e32 vcc, s15, v0
	s_and_saveexec_b64 s[0:1], vcc
	s_cbranch_execz .LBB12_85
; %bb.87:                               ;   in Loop: Header=BB12_86 Depth=1
	v_lshlrev_b64 v[6:7], 2, v[1:2]
	v_mov_b32_e32 v3, s13
	v_add_co_u32_e32 v6, vcc, s12, v6
	v_addc_co_u32_e32 v7, vcc, v3, v7, vcc
	global_load_dword v3, v[6:7], off
	s_cmp_eq_u32 s3, 0
	s_cselect_b64 vcc, -1, 0
	s_waitcnt vmcnt(0)
	v_min_i32_e32 v5, v3, v5
	v_max_i32_e32 v4, v3, v4
	v_cndmask_b32_e32 v4, v4, v3, vcc
	v_cndmask_b32_e32 v5, v5, v3, vcc
	s_branch .LBB12_85
	.section	.rodata,"a",@progbits
	.p2align	6, 0x0
	.amdhsa_kernel _Z23bitPackConfigScanKernelIiiEvPT_S1_PKT0_PKm
		.amdhsa_group_segment_fixed_size 2048
		.amdhsa_private_segment_fixed_size 0
		.amdhsa_kernarg_size 288
		.amdhsa_user_sgpr_count 6
		.amdhsa_user_sgpr_private_segment_buffer 1
		.amdhsa_user_sgpr_dispatch_ptr 0
		.amdhsa_user_sgpr_queue_ptr 0
		.amdhsa_user_sgpr_kernarg_segment_ptr 1
		.amdhsa_user_sgpr_dispatch_id 0
		.amdhsa_user_sgpr_flat_scratch_init 0
		.amdhsa_user_sgpr_private_segment_size 0
		.amdhsa_uses_dynamic_stack 0
		.amdhsa_system_sgpr_private_segment_wavefront_offset 0
		.amdhsa_system_sgpr_workgroup_id_x 1
		.amdhsa_system_sgpr_workgroup_id_y 0
		.amdhsa_system_sgpr_workgroup_id_z 0
		.amdhsa_system_sgpr_workgroup_info 0
		.amdhsa_system_vgpr_workitem_id 0
		.amdhsa_next_free_vgpr 29
		.amdhsa_next_free_sgpr 61
		.amdhsa_reserve_vcc 1
		.amdhsa_reserve_flat_scratch 0
		.amdhsa_float_round_mode_32 0
		.amdhsa_float_round_mode_16_64 0
		.amdhsa_float_denorm_mode_32 3
		.amdhsa_float_denorm_mode_16_64 3
		.amdhsa_dx10_clamp 1
		.amdhsa_ieee_mode 1
		.amdhsa_fp16_overflow 0
		.amdhsa_exception_fp_ieee_invalid_op 0
		.amdhsa_exception_fp_denorm_src 0
		.amdhsa_exception_fp_ieee_div_zero 0
		.amdhsa_exception_fp_ieee_overflow 0
		.amdhsa_exception_fp_ieee_underflow 0
		.amdhsa_exception_fp_ieee_inexact 0
		.amdhsa_exception_int_div_zero 0
	.end_amdhsa_kernel
	.section	.text._Z23bitPackConfigScanKernelIiiEvPT_S1_PKT0_PKm,"axG",@progbits,_Z23bitPackConfigScanKernelIiiEvPT_S1_PKT0_PKm,comdat
.Lfunc_end12:
	.size	_Z23bitPackConfigScanKernelIiiEvPT_S1_PKT0_PKm, .Lfunc_end12-_Z23bitPackConfigScanKernelIiiEvPT_S1_PKT0_PKm
                                        ; -- End function
	.set _Z23bitPackConfigScanKernelIiiEvPT_S1_PKT0_PKm.num_vgpr, 8
	.set _Z23bitPackConfigScanKernelIiiEvPT_S1_PKT0_PKm.num_agpr, 0
	.set _Z23bitPackConfigScanKernelIiiEvPT_S1_PKT0_PKm.numbered_sgpr, 16
	.set _Z23bitPackConfigScanKernelIiiEvPT_S1_PKT0_PKm.num_named_barrier, 0
	.set _Z23bitPackConfigScanKernelIiiEvPT_S1_PKT0_PKm.private_seg_size, 0
	.set _Z23bitPackConfigScanKernelIiiEvPT_S1_PKT0_PKm.uses_vcc, 1
	.set _Z23bitPackConfigScanKernelIiiEvPT_S1_PKT0_PKm.uses_flat_scratch, 0
	.set _Z23bitPackConfigScanKernelIiiEvPT_S1_PKT0_PKm.has_dyn_sized_stack, 0
	.set _Z23bitPackConfigScanKernelIiiEvPT_S1_PKT0_PKm.has_recursion, 0
	.set _Z23bitPackConfigScanKernelIiiEvPT_S1_PKT0_PKm.has_indirect_call, 0
	.section	.AMDGPU.csdata,"",@progbits
; Kernel info:
; codeLenInByte = 1764
; TotalNumSgprs: 20
; NumVgprs: 8
; ScratchSize: 0
; MemoryBound: 0
; FloatMode: 240
; IeeeMode: 1
; LDSByteSize: 2048 bytes/workgroup (compile time only)
; SGPRBlocks: 8
; VGPRBlocks: 7
; NumSGPRsForWavesPerEU: 65
; NumVGPRsForWavesPerEU: 29
; Occupancy: 8
; WaveLimiterHint : 0
; COMPUTE_PGM_RSRC2:SCRATCH_EN: 0
; COMPUTE_PGM_RSRC2:USER_SGPR: 6
; COMPUTE_PGM_RSRC2:TRAP_HANDLER: 0
; COMPUTE_PGM_RSRC2:TGID_X_EN: 1
; COMPUTE_PGM_RSRC2:TGID_Y_EN: 0
; COMPUTE_PGM_RSRC2:TGID_Z_EN: 0
; COMPUTE_PGM_RSRC2:TIDIG_COMP_CNT: 0
	.section	.text._Z27bitPackConfigFinalizeKernelIiiEvPKT_S2_PhPT0_PKm,"axG",@progbits,_Z27bitPackConfigFinalizeKernelIiiEvPKT_S2_PhPT0_PKm,comdat
	.protected	_Z27bitPackConfigFinalizeKernelIiiEvPKT_S2_PhPT0_PKm ; -- Begin function _Z27bitPackConfigFinalizeKernelIiiEvPKT_S2_PhPT0_PKm
	.globl	_Z27bitPackConfigFinalizeKernelIiiEvPKT_S2_PhPT0_PKm
	.p2align	8
	.type	_Z27bitPackConfigFinalizeKernelIiiEvPKT_S2_PhPT0_PKm,@function
_Z27bitPackConfigFinalizeKernelIiiEvPKT_S2_PhPT0_PKm: ; @_Z27bitPackConfigFinalizeKernelIiiEvPKT_S2_PhPT0_PKm
; %bb.0:
	s_load_dwordx2 s[0:1], s[4:5], 0x20
	s_mov_b32 s3, 0
	s_load_dwordx8 s[8:15], s[4:5], 0x0
	v_mov_b32_e32 v3, 0x1000
	v_lshlrev_b32_e32 v7, 2, v0
	s_waitcnt lgkmcnt(0)
	s_load_dwordx2 s[0:1], s[0:1], 0x0
	s_waitcnt lgkmcnt(0)
	s_lshr_b64 s[4:5], s[0:1], 8
	s_and_b32 s2, s0, 0xff
	s_cmp_lg_u64 s[2:3], 0
	s_cselect_b64 s[0:1], -1, 0
	v_cndmask_b32_e64 v1, 0, 1, s[0:1]
	v_mov_b32_e32 v2, s5
	v_add_co_u32_e32 v1, vcc, s4, v1
	v_addc_co_u32_e32 v2, vcc, 0, v2, vcc
	s_mov_b64 s[0:1], 0x1000
	v_cmp_gt_u64_e32 vcc, s[0:1], v[1:2]
	v_cndmask_b32_e32 v8, v3, v1, vcc
	v_cmp_lt_u32_e32 vcc, v0, v8
	s_and_saveexec_b64 s[4:5], vcc
	s_cbranch_execz .LBB13_6
; %bb.1:
	global_load_dword v9, v7, s[8:9]
	global_load_dword v10, v7, s[10:11]
	v_add_u32_e32 v11, 0x100, v0
	v_cmp_lt_u32_e32 vcc, v11, v8
	s_and_saveexec_b64 s[6:7], vcc
	s_cbranch_execz .LBB13_5
; %bb.2:
	v_add_co_u32_e32 v5, vcc, 0x400, v7
	v_addc_co_u32_e64 v6, s[0:1], 0, 0, vcc
	v_mov_b32_e32 v4, s9
	v_add_co_u32_e32 v3, vcc, s8, v5
	v_addc_co_u32_e32 v4, vcc, v4, v6, vcc
	v_mov_b32_e32 v12, s11
	v_add_co_u32_e32 v5, vcc, s10, v5
	v_addc_co_u32_e32 v6, vcc, v12, v6, vcc
	s_mov_b64 s[8:9], 0
	s_movk_i32 s10, 0xeff
.LBB13_3:                               ; =>This Inner Loop Header: Depth=1
	global_load_dword v12, v[3:4], off
	global_load_dword v13, v[5:6], off
	v_add_u32_e32 v14, 0x100, v11
	v_cmp_lt_u32_e64 s[0:1], s10, v11
	v_add_co_u32_e32 v3, vcc, 0x400, v3
	v_cmp_ge_u32_e64 s[2:3], v14, v8
	v_addc_co_u32_e32 v4, vcc, 0, v4, vcc
	s_or_b64 s[0:1], s[0:1], s[2:3]
	v_add_co_u32_e32 v5, vcc, 0x400, v5
	s_and_b64 s[0:1], exec, s[0:1]
	v_mov_b32_e32 v11, v14
	v_addc_co_u32_e32 v6, vcc, 0, v6, vcc
	s_or_b64 s[8:9], s[0:1], s[8:9]
	s_waitcnt vmcnt(1)
	v_min_i32_e32 v9, v12, v9
	s_waitcnt vmcnt(0)
	v_max_i32_e32 v10, v13, v10
	s_andn2_b64 exec, exec, s[8:9]
	s_cbranch_execnz .LBB13_3
; %bb.4:
	s_or_b64 exec, exec, s[8:9]
.LBB13_5:
	s_or_b64 exec, exec, s[6:7]
	s_waitcnt vmcnt(0)
	ds_write2st64_b32 v7, v10, v9 offset1:4
.LBB13_6:
	s_or_b64 exec, exec, s[4:5]
	s_movk_i32 s0, 0x7f
	v_min_u32_e32 v5, 0x100, v8
	v_cmp_lt_u32_e32 vcc, s0, v0
	v_add_u32_e32 v3, 0xfffffe00, v7
	s_waitcnt lgkmcnt(0)
	s_barrier
	s_and_saveexec_b64 s[0:1], vcc
	s_xor_b64 s[2:3], exec, s[0:1]
	s_cbranch_execz .LBB13_10
; %bb.7:
	v_cmp_lt_u32_e64 s[0:1], v0, v5
	s_and_saveexec_b64 s[4:5], s[0:1]
	s_cbranch_execz .LBB13_9
; %bb.8:
	ds_read_b32 v4, v3
	ds_read_b32 v6, v7
	s_waitcnt lgkmcnt(0)
	v_max_i32_e32 v4, v4, v6
	ds_write_b32 v3, v4
.LBB13_9:
	s_or_b64 exec, exec, s[4:5]
.LBB13_10:
	s_or_saveexec_b64 s[2:3], s[2:3]
	v_add_u32_e32 v4, 0x400, v7
	s_xor_b64 exec, exec, s[2:3]
	s_cbranch_execz .LBB13_14
; %bb.11:
	v_or_b32_e32 v6, 0x80, v0
	v_cmp_lt_u32_e64 s[0:1], v6, v5
	s_and_saveexec_b64 s[4:5], s[0:1]
	s_cbranch_execz .LBB13_13
; %bb.12:
	ds_read2st64_b32 v[8:9], v4 offset1:2
	s_waitcnt lgkmcnt(0)
	v_min_i32_e32 v6, v8, v9
	ds_write_b32 v4, v6
.LBB13_13:
	s_or_b64 exec, exec, s[4:5]
.LBB13_14:
	s_or_b64 exec, exec, s[2:3]
	s_waitcnt lgkmcnt(0)
	s_barrier
	s_and_saveexec_b64 s[0:1], vcc
	s_xor_b64 s[2:3], exec, s[0:1]
	s_cbranch_execz .LBB13_19
; %bb.15:
	s_movk_i32 s0, 0xc0
	v_cmp_gt_u32_e64 s[0:1], s0, v0
	s_and_saveexec_b64 s[4:5], s[0:1]
	s_cbranch_execz .LBB13_18
; %bb.16:
	v_subrev_u32_e32 v6, 64, v0
	v_cmp_lt_u32_e64 s[0:1], v6, v5
	s_and_b64 exec, exec, s[0:1]
	s_cbranch_execz .LBB13_18
; %bb.17:
	v_add_u32_e32 v6, 0xffffff00, v7
	ds_read_b32 v8, v3
	ds_read_b32 v6, v6
	s_waitcnt lgkmcnt(0)
	v_max_i32_e32 v6, v8, v6
	ds_write_b32 v3, v6
.LBB13_18:
	s_or_b64 exec, exec, s[4:5]
.LBB13_19:
	s_andn2_saveexec_b64 s[2:3], s[2:3]
	s_cbranch_execz .LBB13_24
; %bb.20:
	v_cmp_gt_u32_e64 s[0:1], 64, v0
	s_and_saveexec_b64 s[4:5], s[0:1]
	s_cbranch_execz .LBB13_23
; %bb.21:
	v_or_b32_e32 v6, 64, v0
	v_cmp_lt_u32_e64 s[0:1], v6, v5
	s_and_b64 exec, exec, s[0:1]
	s_cbranch_execz .LBB13_23
; %bb.22:
	ds_read2st64_b32 v[8:9], v4 offset1:1
	s_waitcnt lgkmcnt(0)
	v_min_i32_e32 v6, v8, v9
	ds_write_b32 v4, v6
.LBB13_23:
	s_or_b64 exec, exec, s[4:5]
.LBB13_24:
	s_or_b64 exec, exec, s[2:3]
	s_waitcnt lgkmcnt(0)
	s_barrier
	s_and_saveexec_b64 s[0:1], vcc
	s_xor_b64 s[2:3], exec, s[0:1]
	s_cbranch_execz .LBB13_29
; %bb.25:
	s_movk_i32 s0, 0xa0
	v_cmp_gt_u32_e64 s[0:1], s0, v0
	s_and_saveexec_b64 s[4:5], s[0:1]
	s_cbranch_execz .LBB13_28
; %bb.26:
	v_add_u32_e32 v6, 0xffffffa0, v0
	v_cmp_lt_u32_e64 s[0:1], v6, v5
	s_and_b64 exec, exec, s[0:1]
	s_cbranch_execz .LBB13_28
; %bb.27:
	v_add_u32_e32 v6, 0xfffffe80, v7
	ds_read_b32 v8, v3
	ds_read_b32 v6, v6
	s_waitcnt lgkmcnt(0)
	v_max_i32_e32 v6, v8, v6
	ds_write_b32 v3, v6
.LBB13_28:
	s_or_b64 exec, exec, s[4:5]
.LBB13_29:
	s_andn2_saveexec_b64 s[2:3], s[2:3]
	s_cbranch_execz .LBB13_34
; %bb.30:
	v_cmp_gt_u32_e64 s[0:1], 32, v0
	s_and_saveexec_b64 s[4:5], s[0:1]
	s_cbranch_execz .LBB13_33
; %bb.31:
	v_or_b32_e32 v6, 32, v0
	v_cmp_lt_u32_e64 s[0:1], v6, v5
	s_and_b64 exec, exec, s[0:1]
	s_cbranch_execz .LBB13_33
; %bb.32:
	ds_read2_b32 v[8:9], v4 offset1:32
	s_waitcnt lgkmcnt(0)
	v_min_i32_e32 v6, v8, v9
	ds_write_b32 v4, v6
.LBB13_33:
	s_or_b64 exec, exec, s[4:5]
.LBB13_34:
	s_or_b64 exec, exec, s[2:3]
	s_waitcnt lgkmcnt(0)
	s_barrier
	s_and_saveexec_b64 s[0:1], vcc
	s_xor_b64 s[2:3], exec, s[0:1]
	s_cbranch_execz .LBB13_39
; %bb.35:
	s_movk_i32 s0, 0x90
	v_cmp_gt_u32_e64 s[0:1], s0, v0
	s_and_saveexec_b64 s[4:5], s[0:1]
	s_cbranch_execz .LBB13_38
; %bb.36:
	v_add_u32_e32 v6, 0xffffff90, v0
	v_cmp_lt_u32_e64 s[0:1], v6, v5
	s_and_b64 exec, exec, s[0:1]
	s_cbranch_execz .LBB13_38
; %bb.37:
	v_add_u32_e32 v6, 0xfffffe40, v7
	ds_read_b32 v8, v3
	ds_read_b32 v6, v6
	s_waitcnt lgkmcnt(0)
	v_max_i32_e32 v6, v8, v6
	ds_write_b32 v3, v6
.LBB13_38:
	s_or_b64 exec, exec, s[4:5]
.LBB13_39:
	s_andn2_saveexec_b64 s[2:3], s[2:3]
	s_cbranch_execz .LBB13_44
; %bb.40:
	v_cmp_gt_u32_e64 s[0:1], 16, v0
	s_and_saveexec_b64 s[4:5], s[0:1]
	s_cbranch_execz .LBB13_43
; %bb.41:
	v_or_b32_e32 v6, 16, v0
	v_cmp_lt_u32_e64 s[0:1], v6, v5
	s_and_b64 exec, exec, s[0:1]
	s_cbranch_execz .LBB13_43
; %bb.42:
	ds_read2_b32 v[8:9], v4 offset1:16
	s_waitcnt lgkmcnt(0)
	v_min_i32_e32 v6, v8, v9
	ds_write_b32 v4, v6
.LBB13_43:
	s_or_b64 exec, exec, s[4:5]
.LBB13_44:
	s_or_b64 exec, exec, s[2:3]
	s_waitcnt lgkmcnt(0)
	s_barrier
	s_and_saveexec_b64 s[0:1], vcc
	s_xor_b64 s[2:3], exec, s[0:1]
	s_cbranch_execz .LBB13_49
; %bb.45:
	s_movk_i32 s0, 0x88
	v_cmp_gt_u32_e64 s[0:1], s0, v0
	s_and_saveexec_b64 s[4:5], s[0:1]
	s_cbranch_execz .LBB13_48
; %bb.46:
	v_add_u32_e32 v6, 0xffffff88, v0
	v_cmp_lt_u32_e64 s[0:1], v6, v5
	s_and_b64 exec, exec, s[0:1]
	s_cbranch_execz .LBB13_48
; %bb.47:
	v_add_u32_e32 v6, 0xfffffe20, v7
	ds_read_b32 v8, v3
	ds_read_b32 v6, v6
	s_waitcnt lgkmcnt(0)
	v_max_i32_e32 v6, v8, v6
	ds_write_b32 v3, v6
.LBB13_48:
	s_or_b64 exec, exec, s[4:5]
.LBB13_49:
	s_andn2_saveexec_b64 s[2:3], s[2:3]
	s_cbranch_execz .LBB13_54
; %bb.50:
	v_cmp_gt_u32_e64 s[0:1], 8, v0
	s_and_saveexec_b64 s[4:5], s[0:1]
	s_cbranch_execz .LBB13_53
; %bb.51:
	v_or_b32_e32 v6, 8, v0
	v_cmp_lt_u32_e64 s[0:1], v6, v5
	s_and_b64 exec, exec, s[0:1]
	s_cbranch_execz .LBB13_53
; %bb.52:
	ds_read2_b32 v[8:9], v4 offset1:8
	s_waitcnt lgkmcnt(0)
	v_min_i32_e32 v6, v8, v9
	ds_write_b32 v4, v6
.LBB13_53:
	s_or_b64 exec, exec, s[4:5]
.LBB13_54:
	s_or_b64 exec, exec, s[2:3]
	s_waitcnt lgkmcnt(0)
	s_barrier
	s_and_saveexec_b64 s[0:1], vcc
	s_xor_b64 s[2:3], exec, s[0:1]
	s_cbranch_execz .LBB13_59
; %bb.55:
	s_movk_i32 s0, 0x84
	v_cmp_gt_u32_e64 s[0:1], s0, v0
	s_and_saveexec_b64 s[4:5], s[0:1]
	s_cbranch_execz .LBB13_58
; %bb.56:
	v_add_u32_e32 v6, 0xffffff84, v0
	v_cmp_lt_u32_e64 s[0:1], v6, v5
	s_and_b64 exec, exec, s[0:1]
	s_cbranch_execz .LBB13_58
; %bb.57:
	v_add_u32_e32 v6, 0xfffffe10, v7
	ds_read_b32 v8, v3
	ds_read_b32 v6, v6
	s_waitcnt lgkmcnt(0)
	v_max_i32_e32 v6, v8, v6
	ds_write_b32 v3, v6
.LBB13_58:
	s_or_b64 exec, exec, s[4:5]
.LBB13_59:
	s_andn2_saveexec_b64 s[2:3], s[2:3]
	s_cbranch_execz .LBB13_64
; %bb.60:
	v_cmp_gt_u32_e64 s[0:1], 4, v0
	s_and_saveexec_b64 s[4:5], s[0:1]
	s_cbranch_execz .LBB13_63
; %bb.61:
	v_or_b32_e32 v6, 4, v0
	v_cmp_lt_u32_e64 s[0:1], v6, v5
	s_and_b64 exec, exec, s[0:1]
	s_cbranch_execz .LBB13_63
; %bb.62:
	ds_read2_b32 v[8:9], v4 offset1:4
	s_waitcnt lgkmcnt(0)
	v_min_i32_e32 v6, v8, v9
	ds_write_b32 v4, v6
.LBB13_63:
	s_or_b64 exec, exec, s[4:5]
.LBB13_64:
	s_or_b64 exec, exec, s[2:3]
	s_waitcnt lgkmcnt(0)
	s_barrier
	s_and_saveexec_b64 s[0:1], vcc
	s_xor_b64 s[2:3], exec, s[0:1]
	s_cbranch_execz .LBB13_69
; %bb.65:
	s_movk_i32 s0, 0x82
	v_cmp_gt_u32_e64 s[0:1], s0, v0
	s_and_saveexec_b64 s[4:5], s[0:1]
	s_cbranch_execz .LBB13_68
; %bb.66:
	v_add_u32_e32 v6, 0xffffff82, v0
	v_cmp_lt_u32_e64 s[0:1], v6, v5
	s_and_b64 exec, exec, s[0:1]
	s_cbranch_execz .LBB13_68
; %bb.67:
	v_add_u32_e32 v5, 0xfffffe08, v7
	ds_read_b32 v6, v3
	ds_read_b32 v5, v5
	s_waitcnt lgkmcnt(0)
	v_max_i32_e32 v5, v6, v5
	ds_write_b32 v3, v5
.LBB13_68:
	s_or_b64 exec, exec, s[4:5]
                                        ; implicit-def: $vgpr5
.LBB13_69:
	s_andn2_saveexec_b64 s[2:3], s[2:3]
	s_cbranch_execz .LBB13_74
; %bb.70:
	v_cmp_gt_u32_e64 s[0:1], 2, v0
	s_and_saveexec_b64 s[4:5], s[0:1]
	s_cbranch_execz .LBB13_73
; %bb.71:
	v_or_b32_e32 v6, 2, v0
	v_cmp_lt_u32_e64 s[0:1], v6, v5
	s_and_b64 exec, exec, s[0:1]
	s_cbranch_execz .LBB13_73
; %bb.72:
	ds_read2_b32 v[5:6], v4 offset1:2
	s_waitcnt lgkmcnt(0)
	v_min_i32_e32 v5, v5, v6
	ds_write_b32 v4, v5
.LBB13_73:
	s_or_b64 exec, exec, s[4:5]
.LBB13_74:
	s_or_b64 exec, exec, s[2:3]
	v_cmp_lt_u64_e64 s[0:1], 1, v[1:2]
	s_waitcnt lgkmcnt(0)
	s_barrier
	s_and_saveexec_b64 s[2:3], vcc
	s_xor_b64 s[2:3], exec, s[2:3]
	s_cbranch_execz .LBB13_78
; %bb.75:
	s_movk_i32 s4, 0x80
	v_cmp_eq_u32_e32 vcc, s4, v0
	s_and_b64 s[6:7], vcc, s[0:1]
	s_and_saveexec_b64 s[4:5], s[6:7]
	s_cbranch_execz .LBB13_77
; %bb.76:
	v_mov_b32_e32 v1, 0
	ds_read_b32 v2, v3
	ds_read_b32 v1, v1 offset:4
	s_waitcnt lgkmcnt(0)
	v_max_i32_e32 v1, v2, v1
	ds_write_b32 v3, v1
.LBB13_77:
	s_or_b64 exec, exec, s[4:5]
                                        ; implicit-def: $vgpr4
.LBB13_78:
	s_andn2_saveexec_b64 s[2:3], s[2:3]
	s_cbranch_execz .LBB13_82
; %bb.79:
	v_cmp_eq_u32_e32 vcc, 0, v0
	s_and_b64 s[4:5], vcc, s[0:1]
	s_and_saveexec_b64 s[0:1], s[4:5]
	s_cbranch_execz .LBB13_81
; %bb.80:
	v_mov_b32_e32 v1, 0
	ds_read_b32 v2, v4
	ds_read_b32 v1, v1 offset:1028
	s_waitcnt lgkmcnt(0)
	v_min_i32_e32 v1, v2, v1
	ds_write_b32 v4, v1
.LBB13_81:
	s_or_b64 exec, exec, s[0:1]
.LBB13_82:
	s_or_b64 exec, exec, s[2:3]
	v_cmp_eq_u32_e32 vcc, 0, v0
	s_waitcnt lgkmcnt(0)
	s_barrier
	s_and_saveexec_b64 s[0:1], vcc
	s_cbranch_execz .LBB13_84
; %bb.83:
	v_mov_b32_e32 v2, 0
	ds_read2st64_b32 v[0:1], v2 offset1:4
	s_waitcnt lgkmcnt(0)
	v_sub_u32_e32 v0, v0, v1
	v_ffbh_u32_e32 v0, v0
	v_min_u32_e32 v0, 0xffff, v0
	v_sub_u16_e64 v0, 32, v0 clamp
	global_store_dword v2, v1, s[14:15]
	global_store_byte v2, v0, s[12:13]
.LBB13_84:
	s_endpgm
	.section	.rodata,"a",@progbits
	.p2align	6, 0x0
	.amdhsa_kernel _Z27bitPackConfigFinalizeKernelIiiEvPKT_S2_PhPT0_PKm
		.amdhsa_group_segment_fixed_size 2048
		.amdhsa_private_segment_fixed_size 0
		.amdhsa_kernarg_size 40
		.amdhsa_user_sgpr_count 6
		.amdhsa_user_sgpr_private_segment_buffer 1
		.amdhsa_user_sgpr_dispatch_ptr 0
		.amdhsa_user_sgpr_queue_ptr 0
		.amdhsa_user_sgpr_kernarg_segment_ptr 1
		.amdhsa_user_sgpr_dispatch_id 0
		.amdhsa_user_sgpr_flat_scratch_init 0
		.amdhsa_user_sgpr_private_segment_size 0
		.amdhsa_uses_dynamic_stack 0
		.amdhsa_system_sgpr_private_segment_wavefront_offset 0
		.amdhsa_system_sgpr_workgroup_id_x 1
		.amdhsa_system_sgpr_workgroup_id_y 0
		.amdhsa_system_sgpr_workgroup_id_z 0
		.amdhsa_system_sgpr_workgroup_info 0
		.amdhsa_system_vgpr_workitem_id 0
		.amdhsa_next_free_vgpr 29
		.amdhsa_next_free_sgpr 61
		.amdhsa_reserve_vcc 1
		.amdhsa_reserve_flat_scratch 0
		.amdhsa_float_round_mode_32 0
		.amdhsa_float_round_mode_16_64 0
		.amdhsa_float_denorm_mode_32 3
		.amdhsa_float_denorm_mode_16_64 3
		.amdhsa_dx10_clamp 1
		.amdhsa_ieee_mode 1
		.amdhsa_fp16_overflow 0
		.amdhsa_exception_fp_ieee_invalid_op 0
		.amdhsa_exception_fp_denorm_src 0
		.amdhsa_exception_fp_ieee_div_zero 0
		.amdhsa_exception_fp_ieee_overflow 0
		.amdhsa_exception_fp_ieee_underflow 0
		.amdhsa_exception_fp_ieee_inexact 0
		.amdhsa_exception_int_div_zero 0
	.end_amdhsa_kernel
	.section	.text._Z27bitPackConfigFinalizeKernelIiiEvPKT_S2_PhPT0_PKm,"axG",@progbits,_Z27bitPackConfigFinalizeKernelIiiEvPKT_S2_PhPT0_PKm,comdat
.Lfunc_end13:
	.size	_Z27bitPackConfigFinalizeKernelIiiEvPKT_S2_PhPT0_PKm, .Lfunc_end13-_Z27bitPackConfigFinalizeKernelIiiEvPKT_S2_PhPT0_PKm
                                        ; -- End function
	.set _Z27bitPackConfigFinalizeKernelIiiEvPKT_S2_PhPT0_PKm.num_vgpr, 15
	.set _Z27bitPackConfigFinalizeKernelIiiEvPKT_S2_PhPT0_PKm.num_agpr, 0
	.set _Z27bitPackConfigFinalizeKernelIiiEvPKT_S2_PhPT0_PKm.numbered_sgpr, 16
	.set _Z27bitPackConfigFinalizeKernelIiiEvPKT_S2_PhPT0_PKm.num_named_barrier, 0
	.set _Z27bitPackConfigFinalizeKernelIiiEvPKT_S2_PhPT0_PKm.private_seg_size, 0
	.set _Z27bitPackConfigFinalizeKernelIiiEvPKT_S2_PhPT0_PKm.uses_vcc, 1
	.set _Z27bitPackConfigFinalizeKernelIiiEvPKT_S2_PhPT0_PKm.uses_flat_scratch, 0
	.set _Z27bitPackConfigFinalizeKernelIiiEvPKT_S2_PhPT0_PKm.has_dyn_sized_stack, 0
	.set _Z27bitPackConfigFinalizeKernelIiiEvPKT_S2_PhPT0_PKm.has_recursion, 0
	.set _Z27bitPackConfigFinalizeKernelIiiEvPKT_S2_PhPT0_PKm.has_indirect_call, 0
	.section	.AMDGPU.csdata,"",@progbits
; Kernel info:
; codeLenInByte = 1836
; TotalNumSgprs: 20
; NumVgprs: 15
; ScratchSize: 0
; MemoryBound: 0
; FloatMode: 240
; IeeeMode: 1
; LDSByteSize: 2048 bytes/workgroup (compile time only)
; SGPRBlocks: 8
; VGPRBlocks: 7
; NumSGPRsForWavesPerEU: 65
; NumVGPRsForWavesPerEU: 29
; Occupancy: 8
; WaveLimiterHint : 0
; COMPUTE_PGM_RSRC2:SCRATCH_EN: 0
; COMPUTE_PGM_RSRC2:USER_SGPR: 6
; COMPUTE_PGM_RSRC2:TRAP_HANDLER: 0
; COMPUTE_PGM_RSRC2:TGID_X_EN: 1
; COMPUTE_PGM_RSRC2:TGID_Y_EN: 0
; COMPUTE_PGM_RSRC2:TGID_Z_EN: 0
; COMPUTE_PGM_RSRC2:TIDIG_COMP_CNT: 0
	.section	.text._Z13bitPackKernelIijEvPKhPKT_PT0_S4_PKm,"axG",@progbits,_Z13bitPackKernelIijEvPKhPKT_PT0_S4_PKm,comdat
	.protected	_Z13bitPackKernelIijEvPKhPKT_PT0_S4_PKm ; -- Begin function _Z13bitPackKernelIijEvPKhPKT_PT0_S4_PKm
	.globl	_Z13bitPackKernelIijEvPKhPKT_PT0_S4_PKm
	.p2align	8
	.type	_Z13bitPackKernelIijEvPKhPKT_PT0_S4_PKm,@function
_Z13bitPackKernelIijEvPKhPKT_PT0_S4_PKm: ; @_Z13bitPackKernelIijEvPKhPKT_PT0_S4_PKm
; %bb.0:
	s_load_dwordx2 s[0:1], s[4:5], 0x20
	s_mov_b32 s16, 0
	s_mov_b32 s9, s16
	s_waitcnt lgkmcnt(0)
	s_load_dwordx2 s[2:3], s[0:1], 0x0
	s_waitcnt lgkmcnt(0)
	s_lshr_b64 s[0:1], s[2:3], 8
	s_and_b32 s8, s2, 0xff
	s_cmp_lg_u64 s[8:9], 0
	s_cselect_b64 s[8:9], -1, 0
	s_cmp_lg_u64 s[8:9], 0
	s_addc_u32 s7, s0, 0
	s_cmp_ge_i32 s6, s7
	s_cbranch_scc1 .LBB14_32
; %bb.1:
	s_load_dwordx8 s[8:15], s[4:5], 0x0
	v_mov_b32_e32 v1, 0
	v_mov_b32_e32 v4, 0x4f800000
	s_load_dword s21, s[4:5], 0x28
	v_lshlrev_b32_e32 v14, 2, v0
	s_waitcnt lgkmcnt(0)
	global_load_ubyte v2, v1, s[8:9]
	s_load_dword s22, s[10:11], 0x0
	s_bfe_i64 s[8:9], s[2:3], 0x200000
	v_mov_b32_e32 v16, 0x100
	s_waitcnt vmcnt(0)
	v_readfirstlane_b32 s20, v2
	v_cvt_f32_u32_e32 v2, s20
	v_cvt_f32_u32_e32 v3, s20
	s_sub_i32 s23, 0, s20
	v_rcp_iflag_f32_e32 v2, v2
	v_mac_f32_e32 v3, 0, v4
	v_rcp_f32_e32 v3, v3
	v_mul_f32_e32 v2, 0x4f7ffffe, v2
	v_cvt_u32_f32_e32 v11, v2
	v_mul_f32_e32 v2, 0x5f7ffffc, v3
	v_mul_f32_e32 v4, 0x2f800000, v2
	v_trunc_f32_e32 v4, v4
	v_mul_lo_u32 v3, s23, v11
	v_mac_f32_e32 v2, 0xcf800000, v4
	v_cvt_u32_f32_e32 v12, v4
	v_cvt_u32_f32_e32 v13, v2
	v_mul_hi_u32 v3, v11, v3
	v_add_u32_e32 v15, v11, v3
	s_branch .LBB14_3
.LBB14_2:                               ;   in Loop: Header=BB14_3 Depth=1
	s_or_b64 exec, exec, s[0:1]
	s_add_i32 s6, s21, s6
	s_cmp_ge_i32 s6, s7
	s_cbranch_scc1 .LBB14_32
.LBB14_3:                               ; =>This Loop Header: Depth=1
                                        ;     Child Loop BB14_19 Depth 2
                                        ;       Child Loop BB14_23 Depth 3
	s_lshl_b32 s4, s6, 8
	v_add_u32_e32 v3, s4, v0
	v_ashrrev_i32_e32 v4, 31, v3
	v_lshlrev_b64 v[5:6], 5, v[3:4]
                                        ; implicit-def: $vgpr7_vgpr8
	v_mov_b32_e32 v2, v6
	v_cmp_ne_u64_e32 vcc, 0, v[1:2]
	s_and_saveexec_b64 s[0:1], vcc
	s_xor_b64 s[10:11], exec, s[0:1]
	s_cbranch_execz .LBB14_5
; %bb.4:                                ;   in Loop: Header=BB14_3 Depth=1
	s_sub_u32 s5, 0, s20
	v_readfirstlane_b32 s0, v13
	v_readfirstlane_b32 s19, v12
	s_subb_u32 s17, 0, 0
	s_mul_hi_u32 s18, s5, s0
	s_mul_i32 s24, s5, s19
	s_mul_i32 s1, s17, s0
	s_add_i32 s18, s18, s24
	s_add_i32 s18, s18, s1
	s_mul_i32 s25, s5, s0
	s_mul_i32 s24, s0, s18
	s_mul_hi_u32 s26, s0, s25
	s_mul_hi_u32 s1, s0, s18
	s_add_u32 s24, s26, s24
	s_addc_u32 s1, 0, s1
	s_mul_hi_u32 s27, s19, s25
	s_mul_i32 s25, s19, s25
	s_add_u32 s24, s24, s25
	s_mul_hi_u32 s26, s19, s18
	s_addc_u32 s1, s1, s27
	s_addc_u32 s24, s26, 0
	s_mul_i32 s18, s19, s18
	s_add_u32 s1, s1, s18
	s_addc_u32 s18, 0, s24
	s_add_u32 s24, s0, s1
	s_cselect_b64 s[0:1], -1, 0
	s_cmp_lg_u64 s[0:1], 0
	s_addc_u32 s18, s19, s18
	s_mul_i32 s0, s5, s18
	s_mul_hi_u32 s1, s5, s24
	s_add_i32 s0, s1, s0
	s_mul_i32 s17, s17, s24
	s_add_i32 s0, s0, s17
	s_mul_i32 s5, s5, s24
	s_mul_hi_u32 s17, s18, s5
	s_mul_i32 s19, s18, s5
	s_mul_i32 s26, s24, s0
	s_mul_hi_u32 s5, s24, s5
	s_mul_hi_u32 s25, s24, s0
	s_add_u32 s5, s5, s26
	s_addc_u32 s25, 0, s25
	s_add_u32 s5, s5, s19
	s_mul_hi_u32 s1, s18, s0
	s_addc_u32 s5, s25, s17
	s_addc_u32 s1, s1, 0
	s_mul_i32 s0, s18, s0
	s_add_u32 s0, s5, s0
	s_addc_u32 s5, 0, s1
	s_add_u32 s17, s24, s0
	s_cselect_b64 s[0:1], -1, 0
	s_cmp_lg_u64 s[0:1], 0
	s_addc_u32 s5, s18, s5
	v_mad_u64_u32 v[7:8], s[0:1], v5, s5, 0
	v_mul_hi_u32 v2, v5, s17
	v_mad_u64_u32 v[9:10], s[0:1], v6, s5, 0
	v_add_co_u32_e32 v2, vcc, v2, v7
	v_addc_co_u32_e32 v17, vcc, 0, v8, vcc
	v_mad_u64_u32 v[7:8], s[0:1], v6, s17, 0
	v_add_co_u32_e32 v2, vcc, v2, v7
	v_addc_co_u32_e32 v2, vcc, v17, v8, vcc
	v_addc_co_u32_e32 v7, vcc, 0, v10, vcc
	v_add_co_u32_e32 v10, vcc, v2, v9
	v_addc_co_u32_e32 v17, vcc, 0, v7, vcc
	v_mad_u64_u32 v[7:8], s[0:1], s20, v10, 0
	v_mov_b32_e32 v2, v8
	v_mad_u64_u32 v[8:9], s[0:1], s20, v17, v[2:3]
	v_sub_co_u32_e32 v2, vcc, v5, v7
	v_subb_co_u32_e32 v7, vcc, v6, v8, vcc
	v_subrev_co_u32_e32 v8, vcc, s20, v2
	v_subbrev_co_u32_e32 v9, vcc, 0, v7, vcc
	v_cmp_le_u32_e32 vcc, s20, v8
	v_cndmask_b32_e64 v8, 0, -1, vcc
	v_cmp_eq_u32_e32 vcc, 0, v9
	v_cndmask_b32_e32 v8, -1, v8, vcc
	v_add_co_u32_e32 v9, vcc, 2, v10
	v_addc_co_u32_e32 v18, vcc, 0, v17, vcc
	v_add_co_u32_e32 v19, vcc, 1, v10
	v_cmp_le_u32_e64 s[0:1], s20, v2
	v_addc_co_u32_e32 v20, vcc, 0, v17, vcc
	v_cndmask_b32_e64 v2, 0, -1, s[0:1]
	v_cmp_eq_u32_e64 s[0:1], 0, v7
	v_cmp_ne_u32_e32 vcc, 0, v8
	v_cndmask_b32_e64 v2, -1, v2, s[0:1]
	v_cndmask_b32_e32 v8, v20, v18, vcc
	v_cmp_ne_u32_e64 s[0:1], 0, v2
	v_cndmask_b32_e32 v2, v19, v9, vcc
	v_cndmask_b32_e64 v8, v17, v8, s[0:1]
	v_cndmask_b32_e64 v7, v10, v2, s[0:1]
.LBB14_5:                               ;   in Loop: Header=BB14_3 Depth=1
	s_andn2_saveexec_b64 s[0:1], s[10:11]
	s_cbranch_execz .LBB14_7
; %bb.6:                                ;   in Loop: Header=BB14_3 Depth=1
	v_mul_hi_u32 v2, v5, v15
	v_mul_lo_u32 v7, v2, s20
	v_add_u32_e32 v8, 1, v2
	v_sub_u32_e32 v7, v5, v7
	v_subrev_u32_e32 v9, s20, v7
	v_cmp_le_u32_e32 vcc, s20, v7
	v_cndmask_b32_e32 v7, v7, v9, vcc
	v_cndmask_b32_e32 v2, v2, v8, vcc
	v_add_u32_e32 v8, 1, v2
	v_cmp_le_u32_e32 vcc, s20, v7
	v_cndmask_b32_e32 v7, v2, v8, vcc
	v_mov_b32_e32 v8, v1
.LBB14_7:                               ;   in Loop: Header=BB14_3 Depth=1
	s_or_b64 exec, exec, s[0:1]
	v_add_co_u32_e32 v17, vcc, 32, v5
	v_addc_co_u32_e32 v2, vcc, 0, v6, vcc
	v_cmp_ne_u64_e32 vcc, 0, v[1:2]
                                        ; implicit-def: $vgpr9_vgpr10
	s_and_saveexec_b64 s[0:1], vcc
	s_xor_b64 s[10:11], exec, s[0:1]
	s_cbranch_execz .LBB14_9
; %bb.8:                                ;   in Loop: Header=BB14_3 Depth=1
	s_sub_u32 s5, 0, s20
	v_readfirstlane_b32 s0, v13
	v_readfirstlane_b32 s19, v12
	s_subb_u32 s17, 0, 0
	s_mul_hi_u32 s18, s5, s0
	s_mul_i32 s24, s5, s19
	s_mul_i32 s1, s17, s0
	s_add_i32 s18, s18, s24
	s_add_i32 s18, s18, s1
	s_mul_i32 s25, s5, s0
	s_mul_i32 s24, s0, s18
	s_mul_hi_u32 s26, s0, s25
	s_mul_hi_u32 s1, s0, s18
	s_add_u32 s24, s26, s24
	s_addc_u32 s1, 0, s1
	s_mul_hi_u32 s27, s19, s25
	s_mul_i32 s25, s19, s25
	s_add_u32 s24, s24, s25
	s_mul_hi_u32 s26, s19, s18
	s_addc_u32 s1, s1, s27
	s_addc_u32 s24, s26, 0
	s_mul_i32 s18, s19, s18
	s_add_u32 s1, s1, s18
	s_addc_u32 s18, 0, s24
	s_add_u32 s24, s0, s1
	s_cselect_b64 s[0:1], -1, 0
	s_cmp_lg_u64 s[0:1], 0
	s_addc_u32 s18, s19, s18
	s_mul_i32 s0, s5, s18
	s_mul_hi_u32 s1, s5, s24
	s_add_i32 s0, s1, s0
	s_mul_i32 s17, s17, s24
	s_add_i32 s0, s0, s17
	s_mul_i32 s5, s5, s24
	s_mul_hi_u32 s17, s18, s5
	s_mul_i32 s19, s18, s5
	s_mul_i32 s26, s24, s0
	s_mul_hi_u32 s5, s24, s5
	s_mul_hi_u32 s25, s24, s0
	s_add_u32 s5, s5, s26
	s_addc_u32 s25, 0, s25
	s_add_u32 s5, s5, s19
	s_mul_hi_u32 s1, s18, s0
	s_addc_u32 s5, s25, s17
	s_addc_u32 s1, s1, 0
	s_mul_i32 s0, s18, s0
	s_add_u32 s0, s5, s0
	s_addc_u32 s5, 0, s1
	s_add_u32 s17, s24, s0
	s_cselect_b64 s[0:1], -1, 0
	s_cmp_lg_u64 s[0:1], 0
	s_addc_u32 s5, s18, s5
	v_mad_u64_u32 v[9:10], s[0:1], v17, s5, 0
	v_mul_hi_u32 v6, v17, s17
	v_mad_u64_u32 v[18:19], s[0:1], v2, s5, 0
	v_add_co_u32_e32 v6, vcc, v6, v9
	v_addc_co_u32_e32 v20, vcc, 0, v10, vcc
	v_mad_u64_u32 v[9:10], s[0:1], v2, s17, 0
	v_add_co_u32_e32 v6, vcc, v6, v9
	v_addc_co_u32_e32 v6, vcc, v20, v10, vcc
	v_addc_co_u32_e32 v9, vcc, 0, v19, vcc
	v_add_co_u32_e32 v20, vcc, v6, v18
	v_addc_co_u32_e32 v21, vcc, 0, v9, vcc
	v_mad_u64_u32 v[9:10], s[0:1], s20, v20, 0
	v_mov_b32_e32 v6, v10
	v_mad_u64_u32 v[18:19], s[0:1], s20, v21, v[6:7]
	v_sub_co_u32_e32 v6, vcc, v17, v9
	v_subb_co_u32_e32 v9, vcc, v2, v18, vcc
	v_subrev_co_u32_e32 v10, vcc, s20, v6
	v_subbrev_co_u32_e32 v18, vcc, 0, v9, vcc
	v_cmp_le_u32_e32 vcc, s20, v10
	v_cndmask_b32_e64 v10, 0, -1, vcc
	v_cmp_eq_u32_e32 vcc, 0, v18
	v_cndmask_b32_e32 v10, -1, v10, vcc
	v_add_co_u32_e32 v18, vcc, 2, v20
	v_addc_co_u32_e32 v19, vcc, 0, v21, vcc
	v_add_co_u32_e32 v22, vcc, 1, v20
	v_cmp_le_u32_e64 s[0:1], s20, v6
	v_addc_co_u32_e32 v23, vcc, 0, v21, vcc
	v_cndmask_b32_e64 v6, 0, -1, s[0:1]
	v_cmp_eq_u32_e64 s[0:1], 0, v9
	v_cmp_ne_u32_e32 vcc, 0, v10
	v_cndmask_b32_e64 v6, -1, v6, s[0:1]
	v_cndmask_b32_e32 v10, v23, v19, vcc
	v_cmp_ne_u32_e64 s[0:1], 0, v6
	v_cndmask_b32_e32 v6, v22, v18, vcc
	v_cndmask_b32_e64 v10, v21, v10, s[0:1]
	v_cndmask_b32_e64 v9, v20, v6, s[0:1]
.LBB14_9:                               ;   in Loop: Header=BB14_3 Depth=1
	s_andn2_saveexec_b64 s[0:1], s[10:11]
	s_cbranch_execz .LBB14_11
; %bb.10:                               ;   in Loop: Header=BB14_3 Depth=1
	v_mul_hi_u32 v6, v17, v15
	v_mul_lo_u32 v9, v6, s20
	v_add_u32_e32 v10, 1, v6
	v_sub_u32_e32 v9, v17, v9
	v_subrev_u32_e32 v18, s20, v9
	v_cmp_le_u32_e32 vcc, s20, v9
	v_cndmask_b32_e32 v9, v9, v18, vcc
	v_cndmask_b32_e32 v6, v6, v10, vcc
	v_add_u32_e32 v10, 1, v6
	v_cmp_le_u32_e32 vcc, s20, v9
	v_cndmask_b32_e32 v9, v6, v10, vcc
	v_mov_b32_e32 v10, v1
.LBB14_11:                              ;   in Loop: Header=BB14_3 Depth=1
	s_or_b64 exec, exec, s[0:1]
	s_ashr_i32 s5, s4, 31
	s_lshl_b64 s[10:11], s[4:5], 5
	s_mov_b32 s17, s11
	s_cmp_lg_u64 s[16:17], 0
	s_cbranch_scc0 .LBB14_30
; %bb.12:                               ;   in Loop: Header=BB14_3 Depth=1
	s_sub_u32 s5, 0, s20
	v_readfirstlane_b32 s0, v13
	v_readfirstlane_b32 s19, v12
	s_subb_u32 s17, 0, 0
	s_mul_hi_u32 s18, s5, s0
	s_mul_i32 s24, s5, s19
	s_mul_i32 s1, s17, s0
	s_add_i32 s18, s18, s24
	s_add_i32 s18, s18, s1
	s_mul_i32 s25, s5, s0
	s_mul_i32 s24, s0, s18
	s_mul_hi_u32 s26, s0, s25
	s_mul_hi_u32 s1, s0, s18
	s_add_u32 s24, s26, s24
	s_addc_u32 s1, 0, s1
	s_mul_hi_u32 s27, s19, s25
	s_mul_i32 s25, s19, s25
	s_add_u32 s24, s24, s25
	s_mul_hi_u32 s26, s19, s18
	s_addc_u32 s1, s1, s27
	s_addc_u32 s24, s26, 0
	s_mul_i32 s18, s19, s18
	s_add_u32 s1, s1, s18
	s_addc_u32 s18, 0, s24
	s_add_u32 s24, s0, s1
	s_cselect_b64 s[0:1], -1, 0
	s_cmp_lg_u64 s[0:1], 0
	s_addc_u32 s18, s19, s18
	s_mul_i32 s0, s5, s18
	s_mul_hi_u32 s1, s5, s24
	s_add_i32 s0, s1, s0
	s_mul_i32 s17, s17, s24
	s_add_i32 s0, s0, s17
	s_mul_i32 s5, s5, s24
	s_mul_hi_u32 s17, s18, s5
	s_mul_i32 s19, s18, s5
	s_mul_i32 s26, s24, s0
	s_mul_hi_u32 s5, s24, s5
	s_mul_hi_u32 s25, s24, s0
	s_add_u32 s5, s5, s26
	s_addc_u32 s25, 0, s25
	s_add_u32 s5, s5, s19
	s_mul_hi_u32 s1, s18, s0
	s_addc_u32 s5, s25, s17
	s_addc_u32 s1, s1, 0
	s_mul_i32 s0, s18, s0
	s_add_u32 s0, s5, s0
	s_addc_u32 s5, 0, s1
	s_add_u32 s17, s24, s0
	s_cselect_b64 s[0:1], -1, 0
	s_cmp_lg_u64 s[0:1], 0
	s_addc_u32 s0, s18, s5
	s_mul_i32 s5, s10, s0
	s_mul_hi_u32 s18, s10, s17
	s_mul_hi_u32 s1, s10, s0
	s_add_u32 s5, s18, s5
	s_addc_u32 s1, 0, s1
	s_mul_hi_u32 s19, s11, s17
	s_mul_i32 s17, s11, s17
	s_add_u32 s5, s5, s17
	s_mul_hi_u32 s18, s11, s0
	s_addc_u32 s1, s1, s19
	s_addc_u32 s5, s18, 0
	s_mul_i32 s0, s11, s0
	s_add_u32 s17, s1, s0
	s_addc_u32 s5, 0, s5
	s_add_u32 s18, s17, 1
	s_addc_u32 s19, s5, 0
	s_add_u32 s24, s17, 2
	s_mul_i32 s0, s20, s5
	s_mul_hi_u32 s1, s20, s17
	s_addc_u32 s25, s5, 0
	s_add_i32 s26, s1, s0
	s_mul_i32 s0, s20, s17
	s_sub_u32 s27, s10, s0
	s_cselect_b64 s[0:1], -1, 0
	s_cmp_lg_u64 s[0:1], 0
	s_subb_u32 s11, s11, s26
	s_sub_u32 s26, s27, s20
	s_cselect_b64 s[0:1], -1, 0
	s_cmp_lg_u64 s[0:1], 0
	s_subb_u32 s0, s11, 0
	s_cmp_ge_u32 s26, s20
	s_cselect_b32 s1, -1, 0
	s_cmp_eq_u32 s0, 0
	s_cselect_b32 s0, s1, -1
	s_cmp_lg_u32 s0, 0
	s_cselect_b32 s0, s24, s18
	s_cselect_b32 s1, s25, s19
	s_cmp_ge_u32 s27, s20
	s_cselect_b32 s18, -1, 0
	s_cmp_eq_u32 s11, 0
	s_cselect_b32 s11, s18, -1
	s_cmp_lg_u32 s11, 0
	s_cselect_b32 s1, s1, s5
	s_cselect_b32 s0, s0, s17
	s_cbranch_execnz .LBB14_14
.LBB14_13:                              ;   in Loop: Header=BB14_3 Depth=1
	v_readfirstlane_b32 s0, v11
	s_mul_i32 s1, s23, s0
	s_mul_hi_u32 s1, s0, s1
	s_add_i32 s0, s0, s1
	s_mul_hi_u32 s0, s10, s0
	s_mul_i32 s5, s0, s20
	s_sub_i32 s5, s10, s5
	s_add_i32 s1, s0, 1
	s_sub_i32 s10, s5, s20
	s_cmp_ge_u32 s5, s20
	s_cselect_b32 s0, s1, s0
	s_cselect_b32 s5, s10, s5
	s_add_i32 s1, s0, 1
	s_cmp_ge_u32 s5, s20
	s_cselect_b32 s0, s1, s0
	s_mov_b32 s1, s16
.LBB14_14:                              ;   in Loop: Header=BB14_3 Depth=1
	s_addk_i32 s4, 0x100
	s_ashr_i32 s5, s4, 31
	s_lshl_b64 s[4:5], s[4:5], 5
	s_mov_b32 s17, s5
	s_cmp_lg_u64 s[16:17], 0
	s_cbranch_scc0 .LBB14_31
; %bb.15:                               ;   in Loop: Header=BB14_3 Depth=1
	s_sub_u32 s17, 0, s20
	v_readfirstlane_b32 s10, v13
	v_readfirstlane_b32 s24, v12
	s_subb_u32 s18, 0, 0
	s_mul_hi_u32 s19, s17, s10
	s_mul_i32 s25, s17, s24
	s_mul_i32 s11, s18, s10
	s_add_i32 s19, s19, s25
	s_add_i32 s19, s19, s11
	s_mul_i32 s26, s17, s10
	s_mul_i32 s25, s10, s19
	s_mul_hi_u32 s27, s10, s26
	s_mul_hi_u32 s11, s10, s19
	s_add_u32 s25, s27, s25
	s_addc_u32 s11, 0, s11
	s_mul_hi_u32 s28, s24, s26
	s_mul_i32 s26, s24, s26
	s_add_u32 s25, s25, s26
	s_mul_hi_u32 s27, s24, s19
	s_addc_u32 s11, s11, s28
	s_addc_u32 s25, s27, 0
	s_mul_i32 s19, s24, s19
	s_add_u32 s11, s11, s19
	s_addc_u32 s19, 0, s25
	s_add_u32 s25, s10, s11
	s_cselect_b64 s[10:11], -1, 0
	s_cmp_lg_u64 s[10:11], 0
	s_addc_u32 s19, s24, s19
	s_mul_i32 s10, s17, s19
	s_mul_hi_u32 s11, s17, s25
	s_add_i32 s10, s11, s10
	s_mul_i32 s18, s18, s25
	s_add_i32 s10, s10, s18
	s_mul_i32 s17, s17, s25
	s_mul_hi_u32 s18, s19, s17
	s_mul_i32 s24, s19, s17
	s_mul_i32 s27, s25, s10
	s_mul_hi_u32 s17, s25, s17
	s_mul_hi_u32 s26, s25, s10
	s_add_u32 s17, s17, s27
	s_addc_u32 s26, 0, s26
	s_add_u32 s17, s17, s24
	s_mul_hi_u32 s11, s19, s10
	s_addc_u32 s17, s26, s18
	s_addc_u32 s11, s11, 0
	s_mul_i32 s10, s19, s10
	s_add_u32 s10, s17, s10
	s_addc_u32 s17, 0, s11
	s_add_u32 s18, s25, s10
	s_cselect_b64 s[10:11], -1, 0
	s_cmp_lg_u64 s[10:11], 0
	s_addc_u32 s10, s19, s17
	s_mul_i32 s17, s4, s10
	s_mul_hi_u32 s19, s4, s18
	s_mul_hi_u32 s11, s4, s10
	s_add_u32 s17, s19, s17
	s_addc_u32 s11, 0, s11
	s_mul_hi_u32 s24, s5, s18
	s_mul_i32 s18, s5, s18
	s_add_u32 s17, s17, s18
	s_mul_hi_u32 s19, s5, s10
	s_addc_u32 s11, s11, s24
	s_addc_u32 s17, s19, 0
	s_mul_i32 s10, s5, s10
	s_add_u32 s18, s11, s10
	s_addc_u32 s17, 0, s17
	s_add_u32 s19, s18, 1
	s_addc_u32 s24, s17, 0
	s_add_u32 s25, s18, 2
	s_mul_i32 s10, s20, s17
	s_mul_hi_u32 s11, s20, s18
	s_addc_u32 s26, s17, 0
	s_add_i32 s27, s11, s10
	s_mul_i32 s10, s20, s18
	s_sub_u32 s28, s4, s10
	s_cselect_b64 s[10:11], -1, 0
	s_cmp_lg_u64 s[10:11], 0
	s_subb_u32 s27, s5, s27
	s_sub_u32 s29, s28, s20
	s_cselect_b64 s[10:11], -1, 0
	s_cmp_lg_u64 s[10:11], 0
	s_subb_u32 s10, s27, 0
	s_cmp_ge_u32 s29, s20
	s_cselect_b32 s11, -1, 0
	s_cmp_eq_u32 s10, 0
	s_cselect_b32 s10, s11, -1
	s_cmp_lg_u32 s10, 0
	s_cselect_b32 s10, s25, s19
	s_cselect_b32 s11, s26, s24
	s_cmp_ge_u32 s28, s20
	s_cselect_b32 s19, -1, 0
	s_cmp_eq_u32 s27, 0
	s_cselect_b32 s19, s19, -1
	s_cmp_lg_u32 s19, 0
	s_cselect_b32 s11, s11, s17
	s_cselect_b32 s10, s10, s18
	s_cbranch_execnz .LBB14_17
.LBB14_16:                              ;   in Loop: Header=BB14_3 Depth=1
	v_readfirstlane_b32 s10, v11
	s_mul_i32 s11, s23, s10
	s_mul_hi_u32 s11, s10, s11
	s_add_i32 s10, s10, s11
	s_mul_hi_u32 s10, s4, s10
	s_mul_i32 s17, s10, s20
	s_sub_i32 s17, s4, s17
	s_add_i32 s11, s10, 1
	s_sub_i32 s18, s17, s20
	s_cmp_ge_u32 s17, s20
	s_cselect_b32 s10, s11, s10
	s_cselect_b32 s17, s18, s17
	s_add_i32 s11, s10, 1
	s_cmp_ge_u32 s17, s20
	s_cselect_b32 s10, s11, s10
	s_mov_b32 s11, s16
.LBB14_17:                              ;   in Loop: Header=BB14_3 Depth=1
	s_and_b32 s17, s0, 0xffffff00
	v_mov_b32_e32 v18, s17
	v_mov_b32_e32 v19, s1
	v_cmp_lt_u64_e32 vcc, s[8:9], v[18:19]
	v_mov_b32_e32 v18, s8
	s_and_b64 s[0:1], vcc, exec
	s_mul_i32 s0, s11, s20
	s_mul_hi_u32 s1, s10, s20
	s_cselect_b32 s17, s8, s17
	s_add_i32 s1, s1, s0
	s_mul_i32 s0, s10, s20
	s_sub_u32 s0, s4, s0
	s_subb_u32 s1, s5, s1
	v_cmp_lt_u64_e32 vcc, s[8:9], v[7:8]
	s_cmp_lg_u64 s[0:1], 0
	s_cselect_b64 s[0:1], -1, 0
	v_cndmask_b32_e32 v6, v7, v18, vcc
	v_cndmask_b32_e64 v7, 0, 1, s[0:1]
	v_mov_b32_e32 v8, s11
	v_add_co_u32_e32 v19, vcc, s10, v7
	v_addc_co_u32_e32 v20, vcc, 0, v8, vcc
	v_and_b32_e32 v7, 0xff, v19
	v_mov_b32_e32 v8, v1
	v_cmp_eq_u64_e32 vcc, 0, v[7:8]
	v_cndmask_b32_e64 v7, v16, 0, vcc
	v_add_co_u32_e32 v7, vcc, v7, v19
	v_addc_co_u32_e32 v8, vcc, 0, v20, vcc
	v_and_b32_e32 v7, 0xffffff00, v7
	v_cmp_lt_u64_e32 vcc, s[8:9], v[7:8]
	v_cndmask_b32_e32 v19, v7, v18, vcc
	v_cmp_ge_i32_e32 vcc, s17, v19
	v_mov_b32_e32 v18, 0
	s_cbranch_vccnz .LBB14_28
; %bb.18:                               ;   in Loop: Header=BB14_3 Depth=1
	v_mad_u64_u32 v[7:8], s[0:1], v9, s20, 0
	v_mov_b32_e32 v18, 0
	v_mad_u64_u32 v[20:21], s[0:1], v10, s20, v[8:9]
	v_sub_co_u32_e32 v7, vcc, v17, v7
	v_subb_co_u32_e32 v8, vcc, v2, v20, vcc
	v_cmp_ne_u64_e32 vcc, 0, v[7:8]
	v_cndmask_b32_e64 v2, 0, 1, vcc
	v_add_co_u32_e32 v7, vcc, v9, v2
	v_addc_co_u32_e32 v8, vcc, 0, v10, vcc
	v_cmp_lt_u64_e32 vcc, s[8:9], v[7:8]
	v_mov_b32_e32 v2, s8
	v_cndmask_b32_e32 v2, v7, v2, vcc
.LBB14_19:                              ;   Parent Loop BB14_3 Depth=1
                                        ; =>  This Loop Header: Depth=2
                                        ;       Child Loop BB14_23 Depth 3
	v_add_u32_e32 v7, s17, v0
	v_ashrrev_i32_e32 v8, 31, v7
	v_cmp_gt_u64_e32 vcc, s[2:3], v[7:8]
	s_waitcnt vmcnt(0) lgkmcnt(0)
	s_barrier
	s_and_saveexec_b64 s[0:1], vcc
	s_cbranch_execz .LBB14_21
; %bb.20:                               ;   in Loop: Header=BB14_19 Depth=2
	v_lshlrev_b64 v[7:8], 2, v[7:8]
	v_mov_b32_e32 v9, s15
	v_add_co_u32_e32 v7, vcc, s14, v7
	v_addc_co_u32_e32 v8, vcc, v9, v8, vcc
	global_load_dword v7, v[7:8], off
	s_waitcnt vmcnt(0)
	v_subrev_u32_e32 v7, s22, v7
	ds_write_b32 v14, v7
.LBB14_21:                              ;   in Loop: Header=BB14_19 Depth=2
	s_or_b64 exec, exec, s[0:1]
	s_add_i32 s10, s17, 0x100
	v_max_i32_e32 v7, s17, v6
	v_min_i32_e32 v8, s10, v2
	v_cmp_lt_i32_e32 vcc, v7, v8
	s_waitcnt lgkmcnt(0)
	s_barrier
	s_and_saveexec_b64 s[0:1], vcc
	s_cbranch_execz .LBB14_25
; %bb.22:                               ;   in Loop: Header=BB14_19 Depth=2
	s_mov_b64 s[4:5], 0
.LBB14_23:                              ;   Parent Loop BB14_3 Depth=1
                                        ;     Parent Loop BB14_19 Depth=2
                                        ; =>    This Inner Loop Header: Depth=3
	v_subrev_u32_e32 v9, s17, v7
	v_mul_lo_u32 v10, v7, s20
	v_lshlrev_b32_e32 v9, 2, v9
	ds_read_b32 v9, v9
	v_add_u32_e32 v7, 1, v7
	v_sub_u32_e32 v10, v10, v5
	v_cmp_ge_i32_e32 vcc, v7, v8
	v_sub_u32_e32 v17, 0, v10
	s_or_b64 s[4:5], vcc, s[4:5]
	s_waitcnt lgkmcnt(0)
	v_lshlrev_b32_e32 v20, v10, v9
	v_lshrrev_b32_e32 v9, v17, v9
	v_cmp_lt_i32_e32 vcc, 0, v10
	v_cndmask_b32_e32 v9, v9, v20, vcc
	v_or_b32_e32 v18, v9, v18
	s_andn2_b64 exec, exec, s[4:5]
	s_cbranch_execnz .LBB14_23
; %bb.24:                               ;   in Loop: Header=BB14_19 Depth=2
	s_or_b64 exec, exec, s[4:5]
.LBB14_25:                              ;   in Loop: Header=BB14_19 Depth=2
	s_or_b64 exec, exec, s[0:1]
; %bb.26:                               ;   in Loop: Header=BB14_19 Depth=2
	v_cmp_lt_i32_e32 vcc, s10, v19
	s_cbranch_vccz .LBB14_28
; %bb.27:                               ;   in Loop: Header=BB14_19 Depth=2
	s_mov_b32 s17, s10
	s_branch .LBB14_19
.LBB14_28:                              ;   in Loop: Header=BB14_3 Depth=1
	v_ashrrev_i32_e32 v7, 31, v6
	v_cmp_gt_u64_e32 vcc, s[2:3], v[6:7]
	s_and_saveexec_b64 s[0:1], vcc
	s_cbranch_execz .LBB14_2
; %bb.29:                               ;   in Loop: Header=BB14_3 Depth=1
	v_lshlrev_b64 v[2:3], 2, v[3:4]
	v_mov_b32_e32 v4, s13
	v_add_co_u32_e32 v2, vcc, s12, v2
	v_addc_co_u32_e32 v3, vcc, v4, v3, vcc
	global_store_dword v[2:3], v18, off
	s_branch .LBB14_2
.LBB14_30:                              ;   in Loop: Header=BB14_3 Depth=1
                                        ; implicit-def: $sgpr0_sgpr1
	s_branch .LBB14_13
.LBB14_31:                              ;   in Loop: Header=BB14_3 Depth=1
                                        ; implicit-def: $sgpr10_sgpr11
	s_branch .LBB14_16
.LBB14_32:
	s_endpgm
	.section	.rodata,"a",@progbits
	.p2align	6, 0x0
	.amdhsa_kernel _Z13bitPackKernelIijEvPKhPKT_PT0_S4_PKm
		.amdhsa_group_segment_fixed_size 1024
		.amdhsa_private_segment_fixed_size 0
		.amdhsa_kernarg_size 296
		.amdhsa_user_sgpr_count 6
		.amdhsa_user_sgpr_private_segment_buffer 1
		.amdhsa_user_sgpr_dispatch_ptr 0
		.amdhsa_user_sgpr_queue_ptr 0
		.amdhsa_user_sgpr_kernarg_segment_ptr 1
		.amdhsa_user_sgpr_dispatch_id 0
		.amdhsa_user_sgpr_flat_scratch_init 0
		.amdhsa_user_sgpr_private_segment_size 0
		.amdhsa_uses_dynamic_stack 0
		.amdhsa_system_sgpr_private_segment_wavefront_offset 0
		.amdhsa_system_sgpr_workgroup_id_x 1
		.amdhsa_system_sgpr_workgroup_id_y 0
		.amdhsa_system_sgpr_workgroup_id_z 0
		.amdhsa_system_sgpr_workgroup_info 0
		.amdhsa_system_vgpr_workitem_id 0
		.amdhsa_next_free_vgpr 24
		.amdhsa_next_free_sgpr 30
		.amdhsa_reserve_vcc 1
		.amdhsa_reserve_flat_scratch 0
		.amdhsa_float_round_mode_32 0
		.amdhsa_float_round_mode_16_64 0
		.amdhsa_float_denorm_mode_32 3
		.amdhsa_float_denorm_mode_16_64 3
		.amdhsa_dx10_clamp 1
		.amdhsa_ieee_mode 1
		.amdhsa_fp16_overflow 0
		.amdhsa_exception_fp_ieee_invalid_op 0
		.amdhsa_exception_fp_denorm_src 0
		.amdhsa_exception_fp_ieee_div_zero 0
		.amdhsa_exception_fp_ieee_overflow 0
		.amdhsa_exception_fp_ieee_underflow 0
		.amdhsa_exception_fp_ieee_inexact 0
		.amdhsa_exception_int_div_zero 0
	.end_amdhsa_kernel
	.section	.text._Z13bitPackKernelIijEvPKhPKT_PT0_S4_PKm,"axG",@progbits,_Z13bitPackKernelIijEvPKhPKT_PT0_S4_PKm,comdat
.Lfunc_end14:
	.size	_Z13bitPackKernelIijEvPKhPKT_PT0_S4_PKm, .Lfunc_end14-_Z13bitPackKernelIijEvPKhPKT_PT0_S4_PKm
                                        ; -- End function
	.set _Z13bitPackKernelIijEvPKhPKT_PT0_S4_PKm.num_vgpr, 24
	.set _Z13bitPackKernelIijEvPKhPKT_PT0_S4_PKm.num_agpr, 0
	.set _Z13bitPackKernelIijEvPKhPKT_PT0_S4_PKm.numbered_sgpr, 30
	.set _Z13bitPackKernelIijEvPKhPKT_PT0_S4_PKm.num_named_barrier, 0
	.set _Z13bitPackKernelIijEvPKhPKT_PT0_S4_PKm.private_seg_size, 0
	.set _Z13bitPackKernelIijEvPKhPKT_PT0_S4_PKm.uses_vcc, 1
	.set _Z13bitPackKernelIijEvPKhPKT_PT0_S4_PKm.uses_flat_scratch, 0
	.set _Z13bitPackKernelIijEvPKhPKT_PT0_S4_PKm.has_dyn_sized_stack, 0
	.set _Z13bitPackKernelIijEvPKhPKT_PT0_S4_PKm.has_recursion, 0
	.set _Z13bitPackKernelIijEvPKhPKT_PT0_S4_PKm.has_indirect_call, 0
	.section	.AMDGPU.csdata,"",@progbits
; Kernel info:
; codeLenInByte = 2708
; TotalNumSgprs: 34
; NumVgprs: 24
; ScratchSize: 0
; MemoryBound: 0
; FloatMode: 240
; IeeeMode: 1
; LDSByteSize: 1024 bytes/workgroup (compile time only)
; SGPRBlocks: 4
; VGPRBlocks: 5
; NumSGPRsForWavesPerEU: 34
; NumVGPRsForWavesPerEU: 24
; Occupancy: 10
; WaveLimiterHint : 0
; COMPUTE_PGM_RSRC2:SCRATCH_EN: 0
; COMPUTE_PGM_RSRC2:USER_SGPR: 6
; COMPUTE_PGM_RSRC2:TRAP_HANDLER: 0
; COMPUTE_PGM_RSRC2:TGID_X_EN: 1
; COMPUTE_PGM_RSRC2:TGID_Y_EN: 0
; COMPUTE_PGM_RSRC2:TGID_Z_EN: 0
; COMPUTE_PGM_RSRC2:TIDIG_COMP_CNT: 0
	.section	.text._Z23bitPackConfigScanKernelIjjEvPT_S1_PKT0_PKm,"axG",@progbits,_Z23bitPackConfigScanKernelIjjEvPT_S1_PKT0_PKm,comdat
	.protected	_Z23bitPackConfigScanKernelIjjEvPT_S1_PKT0_PKm ; -- Begin function _Z23bitPackConfigScanKernelIjjEvPT_S1_PKT0_PKm
	.globl	_Z23bitPackConfigScanKernelIjjEvPT_S1_PKT0_PKm
	.p2align	8
	.type	_Z23bitPackConfigScanKernelIjjEvPT_S1_PKT0_PKm,@function
_Z23bitPackConfigScanKernelIjjEvPT_S1_PKT0_PKm: ; @_Z23bitPackConfigScanKernelIjjEvPT_S1_PKT0_PKm
; %bb.0:
	s_load_dwordx8 s[8:15], s[4:5], 0x0
	s_waitcnt lgkmcnt(0)
	s_load_dwordx2 s[0:1], s[14:15], 0x0
	s_mov_b32 s15, 0
	s_waitcnt lgkmcnt(0)
	s_lshr_b64 s[2:3], s[0:1], 8
	s_and_b32 s14, s0, 0xff
	s_cmp_lg_u64 s[14:15], 0
	s_cselect_b64 s[14:15], -1, 0
	s_cmp_lg_u64 s[14:15], 0
	s_addc_u32 s14, s2, 0
	s_cmp_ge_u32 s6, s14
	s_cbranch_scc1 .LBB15_82
; %bb.1:
	s_cmp_lt_i32 s6, s14
	s_cbranch_scc1 .LBB15_83
; %bb.2:
	s_cbranch_execz .LBB15_84
; %bb.3:
	v_mov_b32_e32 v5, 0
	s_mov_b32 s7, 0
	v_mov_b32_e32 v4, 0
.LBB15_4:
	v_lshlrev_b32_e32 v3, 2, v0
	s_movk_i32 s0, 0x7f
	v_cmp_lt_u32_e32 vcc, s0, v0
	v_add_u32_e32 v1, 0xfffffe00, v3
	ds_write2st64_b32 v3, v4, v5 offset1:4
	s_waitcnt lgkmcnt(0)
	s_barrier
	s_and_saveexec_b64 s[0:1], vcc
	s_xor_b64 s[2:3], exec, s[0:1]
	s_cbranch_execz .LBB15_8
; %bb.5:
	v_cmp_gt_i32_e64 s[0:1], s7, v0
	s_and_saveexec_b64 s[4:5], s[0:1]
	s_cbranch_execz .LBB15_7
; %bb.6:
	ds_read_b32 v2, v1
	ds_read_b32 v4, v3
	s_waitcnt lgkmcnt(0)
	v_max_u32_e32 v2, v2, v4
	ds_write_b32 v1, v2
.LBB15_7:
	s_or_b64 exec, exec, s[4:5]
.LBB15_8:
	s_or_saveexec_b64 s[2:3], s[2:3]
	v_add_u32_e32 v2, 0x400, v3
	s_xor_b64 exec, exec, s[2:3]
	s_cbranch_execz .LBB15_12
; %bb.9:
	v_or_b32_e32 v4, 0x80, v0
	v_cmp_gt_i32_e64 s[0:1], s7, v4
	s_and_saveexec_b64 s[4:5], s[0:1]
	s_cbranch_execz .LBB15_11
; %bb.10:
	ds_read2st64_b32 v[4:5], v2 offset1:2
	s_waitcnt lgkmcnt(0)
	v_min_u32_e32 v4, v4, v5
	ds_write_b32 v2, v4
.LBB15_11:
	s_or_b64 exec, exec, s[4:5]
.LBB15_12:
	s_or_b64 exec, exec, s[2:3]
	s_waitcnt lgkmcnt(0)
	s_barrier
	s_and_saveexec_b64 s[0:1], vcc
	s_xor_b64 s[2:3], exec, s[0:1]
	s_cbranch_execz .LBB15_17
; %bb.13:
	s_movk_i32 s0, 0xc0
	v_cmp_gt_u32_e64 s[0:1], s0, v0
	s_and_saveexec_b64 s[4:5], s[0:1]
	s_cbranch_execz .LBB15_16
; %bb.14:
	v_subrev_u32_e32 v4, 64, v0
	v_cmp_gt_i32_e64 s[0:1], s7, v4
	s_and_b64 exec, exec, s[0:1]
	s_cbranch_execz .LBB15_16
; %bb.15:
	v_add_u32_e32 v4, 0xffffff00, v3
	ds_read_b32 v5, v1
	ds_read_b32 v4, v4
	s_waitcnt lgkmcnt(0)
	v_max_u32_e32 v4, v5, v4
	ds_write_b32 v1, v4
.LBB15_16:
	s_or_b64 exec, exec, s[4:5]
.LBB15_17:
	s_andn2_saveexec_b64 s[2:3], s[2:3]
	s_cbranch_execz .LBB15_22
; %bb.18:
	v_cmp_gt_u32_e64 s[0:1], 64, v0
	s_and_saveexec_b64 s[4:5], s[0:1]
	s_cbranch_execz .LBB15_21
; %bb.19:
	v_or_b32_e32 v4, 64, v0
	v_cmp_gt_i32_e64 s[0:1], s7, v4
	s_and_b64 exec, exec, s[0:1]
	s_cbranch_execz .LBB15_21
; %bb.20:
	ds_read2st64_b32 v[4:5], v2 offset1:1
	s_waitcnt lgkmcnt(0)
	v_min_u32_e32 v4, v4, v5
	ds_write_b32 v2, v4
.LBB15_21:
	s_or_b64 exec, exec, s[4:5]
.LBB15_22:
	s_or_b64 exec, exec, s[2:3]
	s_waitcnt lgkmcnt(0)
	s_barrier
	s_and_saveexec_b64 s[0:1], vcc
	s_xor_b64 s[2:3], exec, s[0:1]
	s_cbranch_execz .LBB15_27
; %bb.23:
	s_movk_i32 s0, 0xa0
	v_cmp_gt_u32_e64 s[0:1], s0, v0
	s_and_saveexec_b64 s[4:5], s[0:1]
	s_cbranch_execz .LBB15_26
; %bb.24:
	v_add_u32_e32 v4, 0xffffffa0, v0
	v_cmp_gt_i32_e64 s[0:1], s7, v4
	s_and_b64 exec, exec, s[0:1]
	s_cbranch_execz .LBB15_26
; %bb.25:
	v_add_u32_e32 v4, 0xfffffe80, v3
	ds_read_b32 v5, v1
	ds_read_b32 v4, v4
	s_waitcnt lgkmcnt(0)
	v_max_u32_e32 v4, v5, v4
	ds_write_b32 v1, v4
.LBB15_26:
	s_or_b64 exec, exec, s[4:5]
.LBB15_27:
	s_andn2_saveexec_b64 s[2:3], s[2:3]
	s_cbranch_execz .LBB15_32
; %bb.28:
	v_cmp_gt_u32_e64 s[0:1], 32, v0
	s_and_saveexec_b64 s[4:5], s[0:1]
	s_cbranch_execz .LBB15_31
; %bb.29:
	v_or_b32_e32 v4, 32, v0
	v_cmp_gt_i32_e64 s[0:1], s7, v4
	s_and_b64 exec, exec, s[0:1]
	s_cbranch_execz .LBB15_31
; %bb.30:
	ds_read2_b32 v[4:5], v2 offset1:32
	s_waitcnt lgkmcnt(0)
	v_min_u32_e32 v4, v4, v5
	ds_write_b32 v2, v4
.LBB15_31:
	s_or_b64 exec, exec, s[4:5]
.LBB15_32:
	s_or_b64 exec, exec, s[2:3]
	s_waitcnt lgkmcnt(0)
	s_barrier
	s_and_saveexec_b64 s[0:1], vcc
	s_xor_b64 s[2:3], exec, s[0:1]
	s_cbranch_execz .LBB15_37
; %bb.33:
	s_movk_i32 s0, 0x90
	v_cmp_gt_u32_e64 s[0:1], s0, v0
	s_and_saveexec_b64 s[4:5], s[0:1]
	s_cbranch_execz .LBB15_36
; %bb.34:
	v_add_u32_e32 v4, 0xffffff90, v0
	v_cmp_gt_i32_e64 s[0:1], s7, v4
	s_and_b64 exec, exec, s[0:1]
	s_cbranch_execz .LBB15_36
; %bb.35:
	v_add_u32_e32 v4, 0xfffffe40, v3
	ds_read_b32 v5, v1
	ds_read_b32 v4, v4
	s_waitcnt lgkmcnt(0)
	v_max_u32_e32 v4, v5, v4
	ds_write_b32 v1, v4
.LBB15_36:
	s_or_b64 exec, exec, s[4:5]
.LBB15_37:
	s_andn2_saveexec_b64 s[2:3], s[2:3]
	s_cbranch_execz .LBB15_42
; %bb.38:
	v_cmp_gt_u32_e64 s[0:1], 16, v0
	s_and_saveexec_b64 s[4:5], s[0:1]
	s_cbranch_execz .LBB15_41
; %bb.39:
	v_or_b32_e32 v4, 16, v0
	v_cmp_gt_i32_e64 s[0:1], s7, v4
	s_and_b64 exec, exec, s[0:1]
	s_cbranch_execz .LBB15_41
; %bb.40:
	ds_read2_b32 v[4:5], v2 offset1:16
	s_waitcnt lgkmcnt(0)
	v_min_u32_e32 v4, v4, v5
	ds_write_b32 v2, v4
.LBB15_41:
	s_or_b64 exec, exec, s[4:5]
.LBB15_42:
	;; [unrolled: 45-line block ×5, first 2 shown]
	s_or_b64 exec, exec, s[2:3]
	s_cmp_gt_i32 s7, 1
	s_cselect_b64 s[0:1], -1, 0
	s_waitcnt lgkmcnt(0)
	s_barrier
	s_and_saveexec_b64 s[2:3], vcc
	s_xor_b64 s[2:3], exec, s[2:3]
	s_cbranch_execz .LBB15_76
; %bb.73:
	s_movk_i32 s4, 0x80
	v_cmp_eq_u32_e32 vcc, s4, v0
	s_and_b64 s[12:13], vcc, s[0:1]
	s_and_saveexec_b64 s[4:5], s[12:13]
	s_cbranch_execz .LBB15_75
; %bb.74:
	v_mov_b32_e32 v2, 0
	ds_read_b32 v3, v1
	ds_read_b32 v2, v2 offset:4
	s_waitcnt lgkmcnt(0)
	v_max_u32_e32 v2, v3, v2
	ds_write_b32 v1, v2
.LBB15_75:
	s_or_b64 exec, exec, s[4:5]
                                        ; implicit-def: $vgpr2
.LBB15_76:
	s_andn2_saveexec_b64 s[2:3], s[2:3]
	s_cbranch_execz .LBB15_80
; %bb.77:
	v_cmp_eq_u32_e32 vcc, 0, v0
	s_and_b64 s[4:5], vcc, s[0:1]
	s_and_saveexec_b64 s[0:1], s[4:5]
	s_cbranch_execz .LBB15_79
; %bb.78:
	v_mov_b32_e32 v1, 0
	ds_read_b32 v3, v2
	ds_read_b32 v1, v1 offset:1028
	s_waitcnt lgkmcnt(0)
	v_min_u32_e32 v1, v3, v1
	ds_write_b32 v2, v1
.LBB15_79:
	s_or_b64 exec, exec, s[0:1]
.LBB15_80:
	s_or_b64 exec, exec, s[2:3]
	s_mov_b32 s7, 0
	v_cmp_eq_u32_e32 vcc, 0, v0
	s_waitcnt lgkmcnt(0)
	s_barrier
	s_and_saveexec_b64 s[0:1], vcc
	s_cbranch_execz .LBB15_82
; %bb.81:
	v_mov_b32_e32 v2, 0
	s_lshl_b64 s[0:1], s[6:7], 2
	ds_read2st64_b32 v[0:1], v2 offset1:4
	s_add_u32 s2, s10, s0
	s_addc_u32 s3, s11, s1
	s_add_u32 s0, s8, s0
	s_addc_u32 s1, s9, s1
	s_waitcnt lgkmcnt(0)
	global_store_dword v2, v1, s[0:1]
	global_store_dword v2, v0, s[2:3]
.LBB15_82:
	s_endpgm
.LBB15_83:
.LBB15_84:
	s_load_dword s2, s[4:5], 0x20
	s_lshl_b32 s1, s6, 8
	v_mov_b32_e32 v2, 0
	s_mov_b32 s3, 0
	v_add_u32_e32 v1, s1, v0
	s_sub_i32 s4, s0, s1
	s_waitcnt lgkmcnt(0)
	s_lshl_b32 s5, s2, 8
	v_mov_b32_e32 v4, 0
	v_mov_b32_e32 v5, v2
	s_mov_b32 s7, 0
	s_branch .LBB15_86
.LBB15_85:                              ;   in Loop: Header=BB15_86 Depth=1
	s_or_b64 exec, exec, s[0:1]
	s_add_i32 s3, s3, s2
	s_max_i32 s7, s7, s15
	s_add_i32 s0, s6, s3
	s_sub_i32 s4, s4, s5
	s_cmp_ge_i32 s0, s14
	v_add_u32_e32 v1, s5, v1
	s_cbranch_scc1 .LBB15_4
.LBB15_86:                              ; =>This Inner Loop Header: Depth=1
	s_min_i32 s15, s4, 0x100
	v_cmp_gt_u32_e32 vcc, s15, v0
	s_and_saveexec_b64 s[0:1], vcc
	s_cbranch_execz .LBB15_85
; %bb.87:                               ;   in Loop: Header=BB15_86 Depth=1
	v_lshlrev_b64 v[6:7], 2, v[1:2]
	v_mov_b32_e32 v3, s13
	v_add_co_u32_e32 v6, vcc, s12, v6
	v_addc_co_u32_e32 v7, vcc, v3, v7, vcc
	global_load_dword v3, v[6:7], off
	s_cmp_eq_u32 s3, 0
	s_cselect_b64 vcc, -1, 0
	s_waitcnt vmcnt(0)
	v_min_u32_e32 v5, v3, v5
	v_max_u32_e32 v4, v3, v4
	v_cndmask_b32_e32 v4, v4, v3, vcc
	v_cndmask_b32_e32 v5, v5, v3, vcc
	s_branch .LBB15_85
	.section	.rodata,"a",@progbits
	.p2align	6, 0x0
	.amdhsa_kernel _Z23bitPackConfigScanKernelIjjEvPT_S1_PKT0_PKm
		.amdhsa_group_segment_fixed_size 2048
		.amdhsa_private_segment_fixed_size 0
		.amdhsa_kernarg_size 288
		.amdhsa_user_sgpr_count 6
		.amdhsa_user_sgpr_private_segment_buffer 1
		.amdhsa_user_sgpr_dispatch_ptr 0
		.amdhsa_user_sgpr_queue_ptr 0
		.amdhsa_user_sgpr_kernarg_segment_ptr 1
		.amdhsa_user_sgpr_dispatch_id 0
		.amdhsa_user_sgpr_flat_scratch_init 0
		.amdhsa_user_sgpr_private_segment_size 0
		.amdhsa_uses_dynamic_stack 0
		.amdhsa_system_sgpr_private_segment_wavefront_offset 0
		.amdhsa_system_sgpr_workgroup_id_x 1
		.amdhsa_system_sgpr_workgroup_id_y 0
		.amdhsa_system_sgpr_workgroup_id_z 0
		.amdhsa_system_sgpr_workgroup_info 0
		.amdhsa_system_vgpr_workitem_id 0
		.amdhsa_next_free_vgpr 29
		.amdhsa_next_free_sgpr 61
		.amdhsa_reserve_vcc 1
		.amdhsa_reserve_flat_scratch 0
		.amdhsa_float_round_mode_32 0
		.amdhsa_float_round_mode_16_64 0
		.amdhsa_float_denorm_mode_32 3
		.amdhsa_float_denorm_mode_16_64 3
		.amdhsa_dx10_clamp 1
		.amdhsa_ieee_mode 1
		.amdhsa_fp16_overflow 0
		.amdhsa_exception_fp_ieee_invalid_op 0
		.amdhsa_exception_fp_denorm_src 0
		.amdhsa_exception_fp_ieee_div_zero 0
		.amdhsa_exception_fp_ieee_overflow 0
		.amdhsa_exception_fp_ieee_underflow 0
		.amdhsa_exception_fp_ieee_inexact 0
		.amdhsa_exception_int_div_zero 0
	.end_amdhsa_kernel
	.section	.text._Z23bitPackConfigScanKernelIjjEvPT_S1_PKT0_PKm,"axG",@progbits,_Z23bitPackConfigScanKernelIjjEvPT_S1_PKT0_PKm,comdat
.Lfunc_end15:
	.size	_Z23bitPackConfigScanKernelIjjEvPT_S1_PKT0_PKm, .Lfunc_end15-_Z23bitPackConfigScanKernelIjjEvPT_S1_PKT0_PKm
                                        ; -- End function
	.set _Z23bitPackConfigScanKernelIjjEvPT_S1_PKT0_PKm.num_vgpr, 8
	.set _Z23bitPackConfigScanKernelIjjEvPT_S1_PKT0_PKm.num_agpr, 0
	.set _Z23bitPackConfigScanKernelIjjEvPT_S1_PKT0_PKm.numbered_sgpr, 16
	.set _Z23bitPackConfigScanKernelIjjEvPT_S1_PKT0_PKm.num_named_barrier, 0
	.set _Z23bitPackConfigScanKernelIjjEvPT_S1_PKT0_PKm.private_seg_size, 0
	.set _Z23bitPackConfigScanKernelIjjEvPT_S1_PKT0_PKm.uses_vcc, 1
	.set _Z23bitPackConfigScanKernelIjjEvPT_S1_PKT0_PKm.uses_flat_scratch, 0
	.set _Z23bitPackConfigScanKernelIjjEvPT_S1_PKT0_PKm.has_dyn_sized_stack, 0
	.set _Z23bitPackConfigScanKernelIjjEvPT_S1_PKT0_PKm.has_recursion, 0
	.set _Z23bitPackConfigScanKernelIjjEvPT_S1_PKT0_PKm.has_indirect_call, 0
	.section	.AMDGPU.csdata,"",@progbits
; Kernel info:
; codeLenInByte = 1764
; TotalNumSgprs: 20
; NumVgprs: 8
; ScratchSize: 0
; MemoryBound: 0
; FloatMode: 240
; IeeeMode: 1
; LDSByteSize: 2048 bytes/workgroup (compile time only)
; SGPRBlocks: 8
; VGPRBlocks: 7
; NumSGPRsForWavesPerEU: 65
; NumVGPRsForWavesPerEU: 29
; Occupancy: 8
; WaveLimiterHint : 0
; COMPUTE_PGM_RSRC2:SCRATCH_EN: 0
; COMPUTE_PGM_RSRC2:USER_SGPR: 6
; COMPUTE_PGM_RSRC2:TRAP_HANDLER: 0
; COMPUTE_PGM_RSRC2:TGID_X_EN: 1
; COMPUTE_PGM_RSRC2:TGID_Y_EN: 0
; COMPUTE_PGM_RSRC2:TGID_Z_EN: 0
; COMPUTE_PGM_RSRC2:TIDIG_COMP_CNT: 0
	.section	.text._Z27bitPackConfigFinalizeKernelIjjEvPKT_S2_PhPT0_PKm,"axG",@progbits,_Z27bitPackConfigFinalizeKernelIjjEvPKT_S2_PhPT0_PKm,comdat
	.protected	_Z27bitPackConfigFinalizeKernelIjjEvPKT_S2_PhPT0_PKm ; -- Begin function _Z27bitPackConfigFinalizeKernelIjjEvPKT_S2_PhPT0_PKm
	.globl	_Z27bitPackConfigFinalizeKernelIjjEvPKT_S2_PhPT0_PKm
	.p2align	8
	.type	_Z27bitPackConfigFinalizeKernelIjjEvPKT_S2_PhPT0_PKm,@function
_Z27bitPackConfigFinalizeKernelIjjEvPKT_S2_PhPT0_PKm: ; @_Z27bitPackConfigFinalizeKernelIjjEvPKT_S2_PhPT0_PKm
; %bb.0:
	s_load_dwordx2 s[0:1], s[4:5], 0x20
	s_mov_b32 s3, 0
	s_load_dwordx8 s[8:15], s[4:5], 0x0
	v_mov_b32_e32 v3, 0x1000
	v_lshlrev_b32_e32 v7, 2, v0
	s_waitcnt lgkmcnt(0)
	s_load_dwordx2 s[0:1], s[0:1], 0x0
	s_waitcnt lgkmcnt(0)
	s_lshr_b64 s[4:5], s[0:1], 8
	s_and_b32 s2, s0, 0xff
	s_cmp_lg_u64 s[2:3], 0
	s_cselect_b64 s[0:1], -1, 0
	v_cndmask_b32_e64 v1, 0, 1, s[0:1]
	v_mov_b32_e32 v2, s5
	v_add_co_u32_e32 v1, vcc, s4, v1
	v_addc_co_u32_e32 v2, vcc, 0, v2, vcc
	s_mov_b64 s[0:1], 0x1000
	v_cmp_gt_u64_e32 vcc, s[0:1], v[1:2]
	v_cndmask_b32_e32 v8, v3, v1, vcc
	v_cmp_lt_u32_e32 vcc, v0, v8
	s_and_saveexec_b64 s[4:5], vcc
	s_cbranch_execz .LBB16_6
; %bb.1:
	global_load_dword v9, v7, s[8:9]
	global_load_dword v10, v7, s[10:11]
	v_add_u32_e32 v11, 0x100, v0
	v_cmp_lt_u32_e32 vcc, v11, v8
	s_and_saveexec_b64 s[6:7], vcc
	s_cbranch_execz .LBB16_5
; %bb.2:
	v_add_co_u32_e32 v5, vcc, 0x400, v7
	v_addc_co_u32_e64 v6, s[0:1], 0, 0, vcc
	v_mov_b32_e32 v4, s9
	v_add_co_u32_e32 v3, vcc, s8, v5
	v_addc_co_u32_e32 v4, vcc, v4, v6, vcc
	v_mov_b32_e32 v12, s11
	v_add_co_u32_e32 v5, vcc, s10, v5
	v_addc_co_u32_e32 v6, vcc, v12, v6, vcc
	s_mov_b64 s[8:9], 0
	s_movk_i32 s10, 0xeff
.LBB16_3:                               ; =>This Inner Loop Header: Depth=1
	global_load_dword v12, v[3:4], off
	global_load_dword v13, v[5:6], off
	v_add_u32_e32 v14, 0x100, v11
	v_cmp_lt_u32_e64 s[0:1], s10, v11
	v_add_co_u32_e32 v3, vcc, 0x400, v3
	v_cmp_ge_u32_e64 s[2:3], v14, v8
	v_addc_co_u32_e32 v4, vcc, 0, v4, vcc
	s_or_b64 s[0:1], s[0:1], s[2:3]
	v_add_co_u32_e32 v5, vcc, 0x400, v5
	s_and_b64 s[0:1], exec, s[0:1]
	v_mov_b32_e32 v11, v14
	v_addc_co_u32_e32 v6, vcc, 0, v6, vcc
	s_or_b64 s[8:9], s[0:1], s[8:9]
	s_waitcnt vmcnt(1)
	v_min_u32_e32 v9, v12, v9
	s_waitcnt vmcnt(0)
	v_max_u32_e32 v10, v13, v10
	s_andn2_b64 exec, exec, s[8:9]
	s_cbranch_execnz .LBB16_3
; %bb.4:
	s_or_b64 exec, exec, s[8:9]
.LBB16_5:
	s_or_b64 exec, exec, s[6:7]
	s_waitcnt vmcnt(0)
	ds_write2st64_b32 v7, v10, v9 offset1:4
.LBB16_6:
	s_or_b64 exec, exec, s[4:5]
	s_movk_i32 s0, 0x7f
	v_min_u32_e32 v5, 0x100, v8
	v_cmp_lt_u32_e32 vcc, s0, v0
	v_add_u32_e32 v3, 0xfffffe00, v7
	s_waitcnt lgkmcnt(0)
	s_barrier
	s_and_saveexec_b64 s[0:1], vcc
	s_xor_b64 s[2:3], exec, s[0:1]
	s_cbranch_execz .LBB16_10
; %bb.7:
	v_cmp_lt_u32_e64 s[0:1], v0, v5
	s_and_saveexec_b64 s[4:5], s[0:1]
	s_cbranch_execz .LBB16_9
; %bb.8:
	ds_read_b32 v4, v3
	ds_read_b32 v6, v7
	s_waitcnt lgkmcnt(0)
	v_max_u32_e32 v4, v4, v6
	ds_write_b32 v3, v4
.LBB16_9:
	s_or_b64 exec, exec, s[4:5]
.LBB16_10:
	s_or_saveexec_b64 s[2:3], s[2:3]
	v_add_u32_e32 v4, 0x400, v7
	s_xor_b64 exec, exec, s[2:3]
	s_cbranch_execz .LBB16_14
; %bb.11:
	v_or_b32_e32 v6, 0x80, v0
	v_cmp_lt_u32_e64 s[0:1], v6, v5
	s_and_saveexec_b64 s[4:5], s[0:1]
	s_cbranch_execz .LBB16_13
; %bb.12:
	ds_read2st64_b32 v[8:9], v4 offset1:2
	s_waitcnt lgkmcnt(0)
	v_min_u32_e32 v6, v8, v9
	ds_write_b32 v4, v6
.LBB16_13:
	s_or_b64 exec, exec, s[4:5]
.LBB16_14:
	s_or_b64 exec, exec, s[2:3]
	s_waitcnt lgkmcnt(0)
	s_barrier
	s_and_saveexec_b64 s[0:1], vcc
	s_xor_b64 s[2:3], exec, s[0:1]
	s_cbranch_execz .LBB16_19
; %bb.15:
	s_movk_i32 s0, 0xc0
	v_cmp_gt_u32_e64 s[0:1], s0, v0
	s_and_saveexec_b64 s[4:5], s[0:1]
	s_cbranch_execz .LBB16_18
; %bb.16:
	v_subrev_u32_e32 v6, 64, v0
	v_cmp_lt_u32_e64 s[0:1], v6, v5
	s_and_b64 exec, exec, s[0:1]
	s_cbranch_execz .LBB16_18
; %bb.17:
	v_add_u32_e32 v6, 0xffffff00, v7
	ds_read_b32 v8, v3
	ds_read_b32 v6, v6
	s_waitcnt lgkmcnt(0)
	v_max_u32_e32 v6, v8, v6
	ds_write_b32 v3, v6
.LBB16_18:
	s_or_b64 exec, exec, s[4:5]
.LBB16_19:
	s_andn2_saveexec_b64 s[2:3], s[2:3]
	s_cbranch_execz .LBB16_24
; %bb.20:
	v_cmp_gt_u32_e64 s[0:1], 64, v0
	s_and_saveexec_b64 s[4:5], s[0:1]
	s_cbranch_execz .LBB16_23
; %bb.21:
	v_or_b32_e32 v6, 64, v0
	v_cmp_lt_u32_e64 s[0:1], v6, v5
	s_and_b64 exec, exec, s[0:1]
	s_cbranch_execz .LBB16_23
; %bb.22:
	ds_read2st64_b32 v[8:9], v4 offset1:1
	s_waitcnt lgkmcnt(0)
	v_min_u32_e32 v6, v8, v9
	ds_write_b32 v4, v6
.LBB16_23:
	s_or_b64 exec, exec, s[4:5]
.LBB16_24:
	s_or_b64 exec, exec, s[2:3]
	s_waitcnt lgkmcnt(0)
	s_barrier
	s_and_saveexec_b64 s[0:1], vcc
	s_xor_b64 s[2:3], exec, s[0:1]
	s_cbranch_execz .LBB16_29
; %bb.25:
	s_movk_i32 s0, 0xa0
	v_cmp_gt_u32_e64 s[0:1], s0, v0
	s_and_saveexec_b64 s[4:5], s[0:1]
	s_cbranch_execz .LBB16_28
; %bb.26:
	v_add_u32_e32 v6, 0xffffffa0, v0
	v_cmp_lt_u32_e64 s[0:1], v6, v5
	s_and_b64 exec, exec, s[0:1]
	s_cbranch_execz .LBB16_28
; %bb.27:
	v_add_u32_e32 v6, 0xfffffe80, v7
	ds_read_b32 v8, v3
	ds_read_b32 v6, v6
	s_waitcnt lgkmcnt(0)
	v_max_u32_e32 v6, v8, v6
	ds_write_b32 v3, v6
.LBB16_28:
	s_or_b64 exec, exec, s[4:5]
.LBB16_29:
	s_andn2_saveexec_b64 s[2:3], s[2:3]
	s_cbranch_execz .LBB16_34
; %bb.30:
	v_cmp_gt_u32_e64 s[0:1], 32, v0
	s_and_saveexec_b64 s[4:5], s[0:1]
	s_cbranch_execz .LBB16_33
; %bb.31:
	v_or_b32_e32 v6, 32, v0
	v_cmp_lt_u32_e64 s[0:1], v6, v5
	s_and_b64 exec, exec, s[0:1]
	s_cbranch_execz .LBB16_33
; %bb.32:
	ds_read2_b32 v[8:9], v4 offset1:32
	s_waitcnt lgkmcnt(0)
	v_min_u32_e32 v6, v8, v9
	ds_write_b32 v4, v6
.LBB16_33:
	s_or_b64 exec, exec, s[4:5]
.LBB16_34:
	s_or_b64 exec, exec, s[2:3]
	s_waitcnt lgkmcnt(0)
	s_barrier
	s_and_saveexec_b64 s[0:1], vcc
	s_xor_b64 s[2:3], exec, s[0:1]
	s_cbranch_execz .LBB16_39
; %bb.35:
	s_movk_i32 s0, 0x90
	v_cmp_gt_u32_e64 s[0:1], s0, v0
	s_and_saveexec_b64 s[4:5], s[0:1]
	s_cbranch_execz .LBB16_38
; %bb.36:
	v_add_u32_e32 v6, 0xffffff90, v0
	v_cmp_lt_u32_e64 s[0:1], v6, v5
	s_and_b64 exec, exec, s[0:1]
	s_cbranch_execz .LBB16_38
; %bb.37:
	v_add_u32_e32 v6, 0xfffffe40, v7
	ds_read_b32 v8, v3
	ds_read_b32 v6, v6
	s_waitcnt lgkmcnt(0)
	v_max_u32_e32 v6, v8, v6
	ds_write_b32 v3, v6
.LBB16_38:
	s_or_b64 exec, exec, s[4:5]
.LBB16_39:
	s_andn2_saveexec_b64 s[2:3], s[2:3]
	s_cbranch_execz .LBB16_44
; %bb.40:
	v_cmp_gt_u32_e64 s[0:1], 16, v0
	s_and_saveexec_b64 s[4:5], s[0:1]
	s_cbranch_execz .LBB16_43
; %bb.41:
	v_or_b32_e32 v6, 16, v0
	v_cmp_lt_u32_e64 s[0:1], v6, v5
	s_and_b64 exec, exec, s[0:1]
	s_cbranch_execz .LBB16_43
; %bb.42:
	ds_read2_b32 v[8:9], v4 offset1:16
	s_waitcnt lgkmcnt(0)
	v_min_u32_e32 v6, v8, v9
	ds_write_b32 v4, v6
.LBB16_43:
	s_or_b64 exec, exec, s[4:5]
.LBB16_44:
	;; [unrolled: 45-line block ×4, first 2 shown]
	s_or_b64 exec, exec, s[2:3]
	s_waitcnt lgkmcnt(0)
	s_barrier
	s_and_saveexec_b64 s[0:1], vcc
	s_xor_b64 s[2:3], exec, s[0:1]
	s_cbranch_execz .LBB16_69
; %bb.65:
	s_movk_i32 s0, 0x82
	v_cmp_gt_u32_e64 s[0:1], s0, v0
	s_and_saveexec_b64 s[4:5], s[0:1]
	s_cbranch_execz .LBB16_68
; %bb.66:
	v_add_u32_e32 v6, 0xffffff82, v0
	v_cmp_lt_u32_e64 s[0:1], v6, v5
	s_and_b64 exec, exec, s[0:1]
	s_cbranch_execz .LBB16_68
; %bb.67:
	v_add_u32_e32 v5, 0xfffffe08, v7
	ds_read_b32 v6, v3
	ds_read_b32 v5, v5
	s_waitcnt lgkmcnt(0)
	v_max_u32_e32 v5, v6, v5
	ds_write_b32 v3, v5
.LBB16_68:
	s_or_b64 exec, exec, s[4:5]
                                        ; implicit-def: $vgpr5
.LBB16_69:
	s_andn2_saveexec_b64 s[2:3], s[2:3]
	s_cbranch_execz .LBB16_74
; %bb.70:
	v_cmp_gt_u32_e64 s[0:1], 2, v0
	s_and_saveexec_b64 s[4:5], s[0:1]
	s_cbranch_execz .LBB16_73
; %bb.71:
	v_or_b32_e32 v6, 2, v0
	v_cmp_lt_u32_e64 s[0:1], v6, v5
	s_and_b64 exec, exec, s[0:1]
	s_cbranch_execz .LBB16_73
; %bb.72:
	ds_read2_b32 v[5:6], v4 offset1:2
	s_waitcnt lgkmcnt(0)
	v_min_u32_e32 v5, v5, v6
	ds_write_b32 v4, v5
.LBB16_73:
	s_or_b64 exec, exec, s[4:5]
.LBB16_74:
	s_or_b64 exec, exec, s[2:3]
	v_cmp_lt_u64_e64 s[0:1], 1, v[1:2]
	s_waitcnt lgkmcnt(0)
	s_barrier
	s_and_saveexec_b64 s[2:3], vcc
	s_xor_b64 s[2:3], exec, s[2:3]
	s_cbranch_execz .LBB16_78
; %bb.75:
	s_movk_i32 s4, 0x80
	v_cmp_eq_u32_e32 vcc, s4, v0
	s_and_b64 s[6:7], vcc, s[0:1]
	s_and_saveexec_b64 s[4:5], s[6:7]
	s_cbranch_execz .LBB16_77
; %bb.76:
	v_mov_b32_e32 v1, 0
	ds_read_b32 v2, v3
	ds_read_b32 v1, v1 offset:4
	s_waitcnt lgkmcnt(0)
	v_max_u32_e32 v1, v2, v1
	ds_write_b32 v3, v1
.LBB16_77:
	s_or_b64 exec, exec, s[4:5]
                                        ; implicit-def: $vgpr4
.LBB16_78:
	s_andn2_saveexec_b64 s[2:3], s[2:3]
	s_cbranch_execz .LBB16_82
; %bb.79:
	v_cmp_eq_u32_e32 vcc, 0, v0
	s_and_b64 s[4:5], vcc, s[0:1]
	s_and_saveexec_b64 s[0:1], s[4:5]
	s_cbranch_execz .LBB16_81
; %bb.80:
	v_mov_b32_e32 v1, 0
	ds_read_b32 v2, v4
	ds_read_b32 v1, v1 offset:1028
	s_waitcnt lgkmcnt(0)
	v_min_u32_e32 v1, v2, v1
	ds_write_b32 v4, v1
.LBB16_81:
	s_or_b64 exec, exec, s[0:1]
.LBB16_82:
	s_or_b64 exec, exec, s[2:3]
	v_cmp_eq_u32_e32 vcc, 0, v0
	s_waitcnt lgkmcnt(0)
	s_barrier
	s_and_saveexec_b64 s[0:1], vcc
	s_cbranch_execz .LBB16_84
; %bb.83:
	v_mov_b32_e32 v2, 0
	ds_read2st64_b32 v[0:1], v2 offset1:4
	s_waitcnt lgkmcnt(0)
	v_sub_u32_e32 v0, v0, v1
	v_ffbh_u32_e32 v0, v0
	v_min_u32_e32 v0, 0xffff, v0
	v_sub_u16_e64 v0, 32, v0 clamp
	global_store_dword v2, v1, s[14:15]
	global_store_byte v2, v0, s[12:13]
.LBB16_84:
	s_endpgm
	.section	.rodata,"a",@progbits
	.p2align	6, 0x0
	.amdhsa_kernel _Z27bitPackConfigFinalizeKernelIjjEvPKT_S2_PhPT0_PKm
		.amdhsa_group_segment_fixed_size 2048
		.amdhsa_private_segment_fixed_size 0
		.amdhsa_kernarg_size 40
		.amdhsa_user_sgpr_count 6
		.amdhsa_user_sgpr_private_segment_buffer 1
		.amdhsa_user_sgpr_dispatch_ptr 0
		.amdhsa_user_sgpr_queue_ptr 0
		.amdhsa_user_sgpr_kernarg_segment_ptr 1
		.amdhsa_user_sgpr_dispatch_id 0
		.amdhsa_user_sgpr_flat_scratch_init 0
		.amdhsa_user_sgpr_private_segment_size 0
		.amdhsa_uses_dynamic_stack 0
		.amdhsa_system_sgpr_private_segment_wavefront_offset 0
		.amdhsa_system_sgpr_workgroup_id_x 1
		.amdhsa_system_sgpr_workgroup_id_y 0
		.amdhsa_system_sgpr_workgroup_id_z 0
		.amdhsa_system_sgpr_workgroup_info 0
		.amdhsa_system_vgpr_workitem_id 0
		.amdhsa_next_free_vgpr 29
		.amdhsa_next_free_sgpr 61
		.amdhsa_reserve_vcc 1
		.amdhsa_reserve_flat_scratch 0
		.amdhsa_float_round_mode_32 0
		.amdhsa_float_round_mode_16_64 0
		.amdhsa_float_denorm_mode_32 3
		.amdhsa_float_denorm_mode_16_64 3
		.amdhsa_dx10_clamp 1
		.amdhsa_ieee_mode 1
		.amdhsa_fp16_overflow 0
		.amdhsa_exception_fp_ieee_invalid_op 0
		.amdhsa_exception_fp_denorm_src 0
		.amdhsa_exception_fp_ieee_div_zero 0
		.amdhsa_exception_fp_ieee_overflow 0
		.amdhsa_exception_fp_ieee_underflow 0
		.amdhsa_exception_fp_ieee_inexact 0
		.amdhsa_exception_int_div_zero 0
	.end_amdhsa_kernel
	.section	.text._Z27bitPackConfigFinalizeKernelIjjEvPKT_S2_PhPT0_PKm,"axG",@progbits,_Z27bitPackConfigFinalizeKernelIjjEvPKT_S2_PhPT0_PKm,comdat
.Lfunc_end16:
	.size	_Z27bitPackConfigFinalizeKernelIjjEvPKT_S2_PhPT0_PKm, .Lfunc_end16-_Z27bitPackConfigFinalizeKernelIjjEvPKT_S2_PhPT0_PKm
                                        ; -- End function
	.set _Z27bitPackConfigFinalizeKernelIjjEvPKT_S2_PhPT0_PKm.num_vgpr, 15
	.set _Z27bitPackConfigFinalizeKernelIjjEvPKT_S2_PhPT0_PKm.num_agpr, 0
	.set _Z27bitPackConfigFinalizeKernelIjjEvPKT_S2_PhPT0_PKm.numbered_sgpr, 16
	.set _Z27bitPackConfigFinalizeKernelIjjEvPKT_S2_PhPT0_PKm.num_named_barrier, 0
	.set _Z27bitPackConfigFinalizeKernelIjjEvPKT_S2_PhPT0_PKm.private_seg_size, 0
	.set _Z27bitPackConfigFinalizeKernelIjjEvPKT_S2_PhPT0_PKm.uses_vcc, 1
	.set _Z27bitPackConfigFinalizeKernelIjjEvPKT_S2_PhPT0_PKm.uses_flat_scratch, 0
	.set _Z27bitPackConfigFinalizeKernelIjjEvPKT_S2_PhPT0_PKm.has_dyn_sized_stack, 0
	.set _Z27bitPackConfigFinalizeKernelIjjEvPKT_S2_PhPT0_PKm.has_recursion, 0
	.set _Z27bitPackConfigFinalizeKernelIjjEvPKT_S2_PhPT0_PKm.has_indirect_call, 0
	.section	.AMDGPU.csdata,"",@progbits
; Kernel info:
; codeLenInByte = 1836
; TotalNumSgprs: 20
; NumVgprs: 15
; ScratchSize: 0
; MemoryBound: 0
; FloatMode: 240
; IeeeMode: 1
; LDSByteSize: 2048 bytes/workgroup (compile time only)
; SGPRBlocks: 8
; VGPRBlocks: 7
; NumSGPRsForWavesPerEU: 65
; NumVGPRsForWavesPerEU: 29
; Occupancy: 8
; WaveLimiterHint : 0
; COMPUTE_PGM_RSRC2:SCRATCH_EN: 0
; COMPUTE_PGM_RSRC2:USER_SGPR: 6
; COMPUTE_PGM_RSRC2:TRAP_HANDLER: 0
; COMPUTE_PGM_RSRC2:TGID_X_EN: 1
; COMPUTE_PGM_RSRC2:TGID_Y_EN: 0
; COMPUTE_PGM_RSRC2:TGID_Z_EN: 0
; COMPUTE_PGM_RSRC2:TIDIG_COMP_CNT: 0
	.section	.text._Z13bitPackKernelIjjEvPKhPKT_PT0_S4_PKm,"axG",@progbits,_Z13bitPackKernelIjjEvPKhPKT_PT0_S4_PKm,comdat
	.protected	_Z13bitPackKernelIjjEvPKhPKT_PT0_S4_PKm ; -- Begin function _Z13bitPackKernelIjjEvPKhPKT_PT0_S4_PKm
	.globl	_Z13bitPackKernelIjjEvPKhPKT_PT0_S4_PKm
	.p2align	8
	.type	_Z13bitPackKernelIjjEvPKhPKT_PT0_S4_PKm,@function
_Z13bitPackKernelIjjEvPKhPKT_PT0_S4_PKm: ; @_Z13bitPackKernelIjjEvPKhPKT_PT0_S4_PKm
; %bb.0:
	s_load_dwordx2 s[0:1], s[4:5], 0x20
	s_mov_b32 s16, 0
	s_mov_b32 s9, s16
	s_waitcnt lgkmcnt(0)
	s_load_dwordx2 s[2:3], s[0:1], 0x0
	s_waitcnt lgkmcnt(0)
	s_lshr_b64 s[0:1], s[2:3], 8
	s_and_b32 s8, s2, 0xff
	s_cmp_lg_u64 s[8:9], 0
	s_cselect_b64 s[8:9], -1, 0
	s_cmp_lg_u64 s[8:9], 0
	s_addc_u32 s7, s0, 0
	s_cmp_ge_i32 s6, s7
	s_cbranch_scc1 .LBB17_32
; %bb.1:
	s_load_dwordx8 s[8:15], s[4:5], 0x0
	v_mov_b32_e32 v1, 0
	v_mov_b32_e32 v4, 0x4f800000
	s_load_dword s21, s[4:5], 0x28
	v_lshlrev_b32_e32 v14, 2, v0
	s_waitcnt lgkmcnt(0)
	global_load_ubyte v2, v1, s[8:9]
	s_load_dword s22, s[10:11], 0x0
	s_bfe_i64 s[8:9], s[2:3], 0x200000
	v_mov_b32_e32 v16, 0x100
	s_waitcnt vmcnt(0)
	v_readfirstlane_b32 s20, v2
	v_cvt_f32_u32_e32 v2, s20
	v_cvt_f32_u32_e32 v3, s20
	s_sub_i32 s23, 0, s20
	v_rcp_iflag_f32_e32 v2, v2
	v_mac_f32_e32 v3, 0, v4
	v_rcp_f32_e32 v3, v3
	v_mul_f32_e32 v2, 0x4f7ffffe, v2
	v_cvt_u32_f32_e32 v11, v2
	v_mul_f32_e32 v2, 0x5f7ffffc, v3
	v_mul_f32_e32 v4, 0x2f800000, v2
	v_trunc_f32_e32 v4, v4
	v_mul_lo_u32 v3, s23, v11
	v_mac_f32_e32 v2, 0xcf800000, v4
	v_cvt_u32_f32_e32 v12, v4
	v_cvt_u32_f32_e32 v13, v2
	v_mul_hi_u32 v3, v11, v3
	v_add_u32_e32 v15, v11, v3
	s_branch .LBB17_3
.LBB17_2:                               ;   in Loop: Header=BB17_3 Depth=1
	s_or_b64 exec, exec, s[0:1]
	s_add_i32 s6, s21, s6
	s_cmp_ge_i32 s6, s7
	s_cbranch_scc1 .LBB17_32
.LBB17_3:                               ; =>This Loop Header: Depth=1
                                        ;     Child Loop BB17_19 Depth 2
                                        ;       Child Loop BB17_23 Depth 3
	s_lshl_b32 s4, s6, 8
	v_add_u32_e32 v3, s4, v0
	v_ashrrev_i32_e32 v4, 31, v3
	v_lshlrev_b64 v[5:6], 5, v[3:4]
                                        ; implicit-def: $vgpr7_vgpr8
	v_mov_b32_e32 v2, v6
	v_cmp_ne_u64_e32 vcc, 0, v[1:2]
	s_and_saveexec_b64 s[0:1], vcc
	s_xor_b64 s[10:11], exec, s[0:1]
	s_cbranch_execz .LBB17_5
; %bb.4:                                ;   in Loop: Header=BB17_3 Depth=1
	s_sub_u32 s5, 0, s20
	v_readfirstlane_b32 s0, v13
	v_readfirstlane_b32 s19, v12
	s_subb_u32 s17, 0, 0
	s_mul_hi_u32 s18, s5, s0
	s_mul_i32 s24, s5, s19
	s_mul_i32 s1, s17, s0
	s_add_i32 s18, s18, s24
	s_add_i32 s18, s18, s1
	s_mul_i32 s25, s5, s0
	s_mul_i32 s24, s0, s18
	s_mul_hi_u32 s26, s0, s25
	s_mul_hi_u32 s1, s0, s18
	s_add_u32 s24, s26, s24
	s_addc_u32 s1, 0, s1
	s_mul_hi_u32 s27, s19, s25
	s_mul_i32 s25, s19, s25
	s_add_u32 s24, s24, s25
	s_mul_hi_u32 s26, s19, s18
	s_addc_u32 s1, s1, s27
	s_addc_u32 s24, s26, 0
	s_mul_i32 s18, s19, s18
	s_add_u32 s1, s1, s18
	s_addc_u32 s18, 0, s24
	s_add_u32 s24, s0, s1
	s_cselect_b64 s[0:1], -1, 0
	s_cmp_lg_u64 s[0:1], 0
	s_addc_u32 s18, s19, s18
	s_mul_i32 s0, s5, s18
	s_mul_hi_u32 s1, s5, s24
	s_add_i32 s0, s1, s0
	s_mul_i32 s17, s17, s24
	s_add_i32 s0, s0, s17
	s_mul_i32 s5, s5, s24
	s_mul_hi_u32 s17, s18, s5
	s_mul_i32 s19, s18, s5
	s_mul_i32 s26, s24, s0
	s_mul_hi_u32 s5, s24, s5
	s_mul_hi_u32 s25, s24, s0
	s_add_u32 s5, s5, s26
	s_addc_u32 s25, 0, s25
	s_add_u32 s5, s5, s19
	s_mul_hi_u32 s1, s18, s0
	s_addc_u32 s5, s25, s17
	s_addc_u32 s1, s1, 0
	s_mul_i32 s0, s18, s0
	s_add_u32 s0, s5, s0
	s_addc_u32 s5, 0, s1
	s_add_u32 s17, s24, s0
	s_cselect_b64 s[0:1], -1, 0
	s_cmp_lg_u64 s[0:1], 0
	s_addc_u32 s5, s18, s5
	v_mad_u64_u32 v[7:8], s[0:1], v5, s5, 0
	v_mul_hi_u32 v2, v5, s17
	v_mad_u64_u32 v[9:10], s[0:1], v6, s5, 0
	v_add_co_u32_e32 v2, vcc, v2, v7
	v_addc_co_u32_e32 v17, vcc, 0, v8, vcc
	v_mad_u64_u32 v[7:8], s[0:1], v6, s17, 0
	v_add_co_u32_e32 v2, vcc, v2, v7
	v_addc_co_u32_e32 v2, vcc, v17, v8, vcc
	v_addc_co_u32_e32 v7, vcc, 0, v10, vcc
	v_add_co_u32_e32 v10, vcc, v2, v9
	v_addc_co_u32_e32 v17, vcc, 0, v7, vcc
	v_mad_u64_u32 v[7:8], s[0:1], s20, v10, 0
	v_mov_b32_e32 v2, v8
	v_mad_u64_u32 v[8:9], s[0:1], s20, v17, v[2:3]
	v_sub_co_u32_e32 v2, vcc, v5, v7
	v_subb_co_u32_e32 v7, vcc, v6, v8, vcc
	v_subrev_co_u32_e32 v8, vcc, s20, v2
	v_subbrev_co_u32_e32 v9, vcc, 0, v7, vcc
	v_cmp_le_u32_e32 vcc, s20, v8
	v_cndmask_b32_e64 v8, 0, -1, vcc
	v_cmp_eq_u32_e32 vcc, 0, v9
	v_cndmask_b32_e32 v8, -1, v8, vcc
	v_add_co_u32_e32 v9, vcc, 2, v10
	v_addc_co_u32_e32 v18, vcc, 0, v17, vcc
	v_add_co_u32_e32 v19, vcc, 1, v10
	v_cmp_le_u32_e64 s[0:1], s20, v2
	v_addc_co_u32_e32 v20, vcc, 0, v17, vcc
	v_cndmask_b32_e64 v2, 0, -1, s[0:1]
	v_cmp_eq_u32_e64 s[0:1], 0, v7
	v_cmp_ne_u32_e32 vcc, 0, v8
	v_cndmask_b32_e64 v2, -1, v2, s[0:1]
	v_cndmask_b32_e32 v8, v20, v18, vcc
	v_cmp_ne_u32_e64 s[0:1], 0, v2
	v_cndmask_b32_e32 v2, v19, v9, vcc
	v_cndmask_b32_e64 v8, v17, v8, s[0:1]
	v_cndmask_b32_e64 v7, v10, v2, s[0:1]
.LBB17_5:                               ;   in Loop: Header=BB17_3 Depth=1
	s_andn2_saveexec_b64 s[0:1], s[10:11]
	s_cbranch_execz .LBB17_7
; %bb.6:                                ;   in Loop: Header=BB17_3 Depth=1
	v_mul_hi_u32 v2, v5, v15
	v_mul_lo_u32 v7, v2, s20
	v_add_u32_e32 v8, 1, v2
	v_sub_u32_e32 v7, v5, v7
	v_subrev_u32_e32 v9, s20, v7
	v_cmp_le_u32_e32 vcc, s20, v7
	v_cndmask_b32_e32 v7, v7, v9, vcc
	v_cndmask_b32_e32 v2, v2, v8, vcc
	v_add_u32_e32 v8, 1, v2
	v_cmp_le_u32_e32 vcc, s20, v7
	v_cndmask_b32_e32 v7, v2, v8, vcc
	v_mov_b32_e32 v8, v1
.LBB17_7:                               ;   in Loop: Header=BB17_3 Depth=1
	s_or_b64 exec, exec, s[0:1]
	v_add_co_u32_e32 v17, vcc, 32, v5
	v_addc_co_u32_e32 v2, vcc, 0, v6, vcc
	v_cmp_ne_u64_e32 vcc, 0, v[1:2]
                                        ; implicit-def: $vgpr9_vgpr10
	s_and_saveexec_b64 s[0:1], vcc
	s_xor_b64 s[10:11], exec, s[0:1]
	s_cbranch_execz .LBB17_9
; %bb.8:                                ;   in Loop: Header=BB17_3 Depth=1
	s_sub_u32 s5, 0, s20
	v_readfirstlane_b32 s0, v13
	v_readfirstlane_b32 s19, v12
	s_subb_u32 s17, 0, 0
	s_mul_hi_u32 s18, s5, s0
	s_mul_i32 s24, s5, s19
	s_mul_i32 s1, s17, s0
	s_add_i32 s18, s18, s24
	s_add_i32 s18, s18, s1
	s_mul_i32 s25, s5, s0
	s_mul_i32 s24, s0, s18
	s_mul_hi_u32 s26, s0, s25
	s_mul_hi_u32 s1, s0, s18
	s_add_u32 s24, s26, s24
	s_addc_u32 s1, 0, s1
	s_mul_hi_u32 s27, s19, s25
	s_mul_i32 s25, s19, s25
	s_add_u32 s24, s24, s25
	s_mul_hi_u32 s26, s19, s18
	s_addc_u32 s1, s1, s27
	s_addc_u32 s24, s26, 0
	s_mul_i32 s18, s19, s18
	s_add_u32 s1, s1, s18
	s_addc_u32 s18, 0, s24
	s_add_u32 s24, s0, s1
	s_cselect_b64 s[0:1], -1, 0
	s_cmp_lg_u64 s[0:1], 0
	s_addc_u32 s18, s19, s18
	s_mul_i32 s0, s5, s18
	s_mul_hi_u32 s1, s5, s24
	s_add_i32 s0, s1, s0
	s_mul_i32 s17, s17, s24
	s_add_i32 s0, s0, s17
	s_mul_i32 s5, s5, s24
	s_mul_hi_u32 s17, s18, s5
	s_mul_i32 s19, s18, s5
	s_mul_i32 s26, s24, s0
	s_mul_hi_u32 s5, s24, s5
	s_mul_hi_u32 s25, s24, s0
	s_add_u32 s5, s5, s26
	s_addc_u32 s25, 0, s25
	s_add_u32 s5, s5, s19
	s_mul_hi_u32 s1, s18, s0
	s_addc_u32 s5, s25, s17
	s_addc_u32 s1, s1, 0
	s_mul_i32 s0, s18, s0
	s_add_u32 s0, s5, s0
	s_addc_u32 s5, 0, s1
	s_add_u32 s17, s24, s0
	s_cselect_b64 s[0:1], -1, 0
	s_cmp_lg_u64 s[0:1], 0
	s_addc_u32 s5, s18, s5
	v_mad_u64_u32 v[9:10], s[0:1], v17, s5, 0
	v_mul_hi_u32 v6, v17, s17
	v_mad_u64_u32 v[18:19], s[0:1], v2, s5, 0
	v_add_co_u32_e32 v6, vcc, v6, v9
	v_addc_co_u32_e32 v20, vcc, 0, v10, vcc
	v_mad_u64_u32 v[9:10], s[0:1], v2, s17, 0
	v_add_co_u32_e32 v6, vcc, v6, v9
	v_addc_co_u32_e32 v6, vcc, v20, v10, vcc
	v_addc_co_u32_e32 v9, vcc, 0, v19, vcc
	v_add_co_u32_e32 v20, vcc, v6, v18
	v_addc_co_u32_e32 v21, vcc, 0, v9, vcc
	v_mad_u64_u32 v[9:10], s[0:1], s20, v20, 0
	v_mov_b32_e32 v6, v10
	v_mad_u64_u32 v[18:19], s[0:1], s20, v21, v[6:7]
	v_sub_co_u32_e32 v6, vcc, v17, v9
	v_subb_co_u32_e32 v9, vcc, v2, v18, vcc
	v_subrev_co_u32_e32 v10, vcc, s20, v6
	v_subbrev_co_u32_e32 v18, vcc, 0, v9, vcc
	v_cmp_le_u32_e32 vcc, s20, v10
	v_cndmask_b32_e64 v10, 0, -1, vcc
	v_cmp_eq_u32_e32 vcc, 0, v18
	v_cndmask_b32_e32 v10, -1, v10, vcc
	v_add_co_u32_e32 v18, vcc, 2, v20
	v_addc_co_u32_e32 v19, vcc, 0, v21, vcc
	v_add_co_u32_e32 v22, vcc, 1, v20
	v_cmp_le_u32_e64 s[0:1], s20, v6
	v_addc_co_u32_e32 v23, vcc, 0, v21, vcc
	v_cndmask_b32_e64 v6, 0, -1, s[0:1]
	v_cmp_eq_u32_e64 s[0:1], 0, v9
	v_cmp_ne_u32_e32 vcc, 0, v10
	v_cndmask_b32_e64 v6, -1, v6, s[0:1]
	v_cndmask_b32_e32 v10, v23, v19, vcc
	v_cmp_ne_u32_e64 s[0:1], 0, v6
	v_cndmask_b32_e32 v6, v22, v18, vcc
	v_cndmask_b32_e64 v10, v21, v10, s[0:1]
	v_cndmask_b32_e64 v9, v20, v6, s[0:1]
.LBB17_9:                               ;   in Loop: Header=BB17_3 Depth=1
	s_andn2_saveexec_b64 s[0:1], s[10:11]
	s_cbranch_execz .LBB17_11
; %bb.10:                               ;   in Loop: Header=BB17_3 Depth=1
	v_mul_hi_u32 v6, v17, v15
	v_mul_lo_u32 v9, v6, s20
	v_add_u32_e32 v10, 1, v6
	v_sub_u32_e32 v9, v17, v9
	v_subrev_u32_e32 v18, s20, v9
	v_cmp_le_u32_e32 vcc, s20, v9
	v_cndmask_b32_e32 v9, v9, v18, vcc
	v_cndmask_b32_e32 v6, v6, v10, vcc
	v_add_u32_e32 v10, 1, v6
	v_cmp_le_u32_e32 vcc, s20, v9
	v_cndmask_b32_e32 v9, v6, v10, vcc
	v_mov_b32_e32 v10, v1
.LBB17_11:                              ;   in Loop: Header=BB17_3 Depth=1
	s_or_b64 exec, exec, s[0:1]
	s_ashr_i32 s5, s4, 31
	s_lshl_b64 s[10:11], s[4:5], 5
	s_mov_b32 s17, s11
	s_cmp_lg_u64 s[16:17], 0
	s_cbranch_scc0 .LBB17_30
; %bb.12:                               ;   in Loop: Header=BB17_3 Depth=1
	s_sub_u32 s5, 0, s20
	v_readfirstlane_b32 s0, v13
	v_readfirstlane_b32 s19, v12
	s_subb_u32 s17, 0, 0
	s_mul_hi_u32 s18, s5, s0
	s_mul_i32 s24, s5, s19
	s_mul_i32 s1, s17, s0
	s_add_i32 s18, s18, s24
	s_add_i32 s18, s18, s1
	s_mul_i32 s25, s5, s0
	s_mul_i32 s24, s0, s18
	s_mul_hi_u32 s26, s0, s25
	s_mul_hi_u32 s1, s0, s18
	s_add_u32 s24, s26, s24
	s_addc_u32 s1, 0, s1
	s_mul_hi_u32 s27, s19, s25
	s_mul_i32 s25, s19, s25
	s_add_u32 s24, s24, s25
	s_mul_hi_u32 s26, s19, s18
	s_addc_u32 s1, s1, s27
	s_addc_u32 s24, s26, 0
	s_mul_i32 s18, s19, s18
	s_add_u32 s1, s1, s18
	s_addc_u32 s18, 0, s24
	s_add_u32 s24, s0, s1
	s_cselect_b64 s[0:1], -1, 0
	s_cmp_lg_u64 s[0:1], 0
	s_addc_u32 s18, s19, s18
	s_mul_i32 s0, s5, s18
	s_mul_hi_u32 s1, s5, s24
	s_add_i32 s0, s1, s0
	s_mul_i32 s17, s17, s24
	s_add_i32 s0, s0, s17
	s_mul_i32 s5, s5, s24
	s_mul_hi_u32 s17, s18, s5
	s_mul_i32 s19, s18, s5
	s_mul_i32 s26, s24, s0
	s_mul_hi_u32 s5, s24, s5
	s_mul_hi_u32 s25, s24, s0
	s_add_u32 s5, s5, s26
	s_addc_u32 s25, 0, s25
	s_add_u32 s5, s5, s19
	s_mul_hi_u32 s1, s18, s0
	s_addc_u32 s5, s25, s17
	s_addc_u32 s1, s1, 0
	s_mul_i32 s0, s18, s0
	s_add_u32 s0, s5, s0
	s_addc_u32 s5, 0, s1
	s_add_u32 s17, s24, s0
	s_cselect_b64 s[0:1], -1, 0
	s_cmp_lg_u64 s[0:1], 0
	s_addc_u32 s0, s18, s5
	s_mul_i32 s5, s10, s0
	s_mul_hi_u32 s18, s10, s17
	s_mul_hi_u32 s1, s10, s0
	s_add_u32 s5, s18, s5
	s_addc_u32 s1, 0, s1
	s_mul_hi_u32 s19, s11, s17
	s_mul_i32 s17, s11, s17
	s_add_u32 s5, s5, s17
	s_mul_hi_u32 s18, s11, s0
	s_addc_u32 s1, s1, s19
	s_addc_u32 s5, s18, 0
	s_mul_i32 s0, s11, s0
	s_add_u32 s17, s1, s0
	s_addc_u32 s5, 0, s5
	s_add_u32 s18, s17, 1
	s_addc_u32 s19, s5, 0
	s_add_u32 s24, s17, 2
	s_mul_i32 s0, s20, s5
	s_mul_hi_u32 s1, s20, s17
	s_addc_u32 s25, s5, 0
	s_add_i32 s26, s1, s0
	s_mul_i32 s0, s20, s17
	s_sub_u32 s27, s10, s0
	s_cselect_b64 s[0:1], -1, 0
	s_cmp_lg_u64 s[0:1], 0
	s_subb_u32 s11, s11, s26
	s_sub_u32 s26, s27, s20
	s_cselect_b64 s[0:1], -1, 0
	s_cmp_lg_u64 s[0:1], 0
	s_subb_u32 s0, s11, 0
	s_cmp_ge_u32 s26, s20
	s_cselect_b32 s1, -1, 0
	s_cmp_eq_u32 s0, 0
	s_cselect_b32 s0, s1, -1
	s_cmp_lg_u32 s0, 0
	s_cselect_b32 s0, s24, s18
	s_cselect_b32 s1, s25, s19
	s_cmp_ge_u32 s27, s20
	s_cselect_b32 s18, -1, 0
	s_cmp_eq_u32 s11, 0
	s_cselect_b32 s11, s18, -1
	s_cmp_lg_u32 s11, 0
	s_cselect_b32 s1, s1, s5
	s_cselect_b32 s0, s0, s17
	s_cbranch_execnz .LBB17_14
.LBB17_13:                              ;   in Loop: Header=BB17_3 Depth=1
	v_readfirstlane_b32 s0, v11
	s_mul_i32 s1, s23, s0
	s_mul_hi_u32 s1, s0, s1
	s_add_i32 s0, s0, s1
	s_mul_hi_u32 s0, s10, s0
	s_mul_i32 s5, s0, s20
	s_sub_i32 s5, s10, s5
	s_add_i32 s1, s0, 1
	s_sub_i32 s10, s5, s20
	s_cmp_ge_u32 s5, s20
	s_cselect_b32 s0, s1, s0
	s_cselect_b32 s5, s10, s5
	s_add_i32 s1, s0, 1
	s_cmp_ge_u32 s5, s20
	s_cselect_b32 s0, s1, s0
	s_mov_b32 s1, s16
.LBB17_14:                              ;   in Loop: Header=BB17_3 Depth=1
	s_addk_i32 s4, 0x100
	s_ashr_i32 s5, s4, 31
	s_lshl_b64 s[4:5], s[4:5], 5
	s_mov_b32 s17, s5
	s_cmp_lg_u64 s[16:17], 0
	s_cbranch_scc0 .LBB17_31
; %bb.15:                               ;   in Loop: Header=BB17_3 Depth=1
	s_sub_u32 s17, 0, s20
	v_readfirstlane_b32 s10, v13
	v_readfirstlane_b32 s24, v12
	s_subb_u32 s18, 0, 0
	s_mul_hi_u32 s19, s17, s10
	s_mul_i32 s25, s17, s24
	s_mul_i32 s11, s18, s10
	s_add_i32 s19, s19, s25
	s_add_i32 s19, s19, s11
	s_mul_i32 s26, s17, s10
	s_mul_i32 s25, s10, s19
	s_mul_hi_u32 s27, s10, s26
	s_mul_hi_u32 s11, s10, s19
	s_add_u32 s25, s27, s25
	s_addc_u32 s11, 0, s11
	s_mul_hi_u32 s28, s24, s26
	s_mul_i32 s26, s24, s26
	s_add_u32 s25, s25, s26
	s_mul_hi_u32 s27, s24, s19
	s_addc_u32 s11, s11, s28
	s_addc_u32 s25, s27, 0
	s_mul_i32 s19, s24, s19
	s_add_u32 s11, s11, s19
	s_addc_u32 s19, 0, s25
	s_add_u32 s25, s10, s11
	s_cselect_b64 s[10:11], -1, 0
	s_cmp_lg_u64 s[10:11], 0
	s_addc_u32 s19, s24, s19
	s_mul_i32 s10, s17, s19
	s_mul_hi_u32 s11, s17, s25
	s_add_i32 s10, s11, s10
	s_mul_i32 s18, s18, s25
	s_add_i32 s10, s10, s18
	s_mul_i32 s17, s17, s25
	s_mul_hi_u32 s18, s19, s17
	s_mul_i32 s24, s19, s17
	s_mul_i32 s27, s25, s10
	s_mul_hi_u32 s17, s25, s17
	s_mul_hi_u32 s26, s25, s10
	s_add_u32 s17, s17, s27
	s_addc_u32 s26, 0, s26
	s_add_u32 s17, s17, s24
	s_mul_hi_u32 s11, s19, s10
	s_addc_u32 s17, s26, s18
	s_addc_u32 s11, s11, 0
	s_mul_i32 s10, s19, s10
	s_add_u32 s10, s17, s10
	s_addc_u32 s17, 0, s11
	s_add_u32 s18, s25, s10
	s_cselect_b64 s[10:11], -1, 0
	s_cmp_lg_u64 s[10:11], 0
	s_addc_u32 s10, s19, s17
	s_mul_i32 s17, s4, s10
	s_mul_hi_u32 s19, s4, s18
	s_mul_hi_u32 s11, s4, s10
	s_add_u32 s17, s19, s17
	s_addc_u32 s11, 0, s11
	s_mul_hi_u32 s24, s5, s18
	s_mul_i32 s18, s5, s18
	s_add_u32 s17, s17, s18
	s_mul_hi_u32 s19, s5, s10
	s_addc_u32 s11, s11, s24
	s_addc_u32 s17, s19, 0
	s_mul_i32 s10, s5, s10
	s_add_u32 s18, s11, s10
	s_addc_u32 s17, 0, s17
	s_add_u32 s19, s18, 1
	s_addc_u32 s24, s17, 0
	s_add_u32 s25, s18, 2
	s_mul_i32 s10, s20, s17
	s_mul_hi_u32 s11, s20, s18
	s_addc_u32 s26, s17, 0
	s_add_i32 s27, s11, s10
	s_mul_i32 s10, s20, s18
	s_sub_u32 s28, s4, s10
	s_cselect_b64 s[10:11], -1, 0
	s_cmp_lg_u64 s[10:11], 0
	s_subb_u32 s27, s5, s27
	s_sub_u32 s29, s28, s20
	s_cselect_b64 s[10:11], -1, 0
	s_cmp_lg_u64 s[10:11], 0
	s_subb_u32 s10, s27, 0
	s_cmp_ge_u32 s29, s20
	s_cselect_b32 s11, -1, 0
	s_cmp_eq_u32 s10, 0
	s_cselect_b32 s10, s11, -1
	s_cmp_lg_u32 s10, 0
	s_cselect_b32 s10, s25, s19
	s_cselect_b32 s11, s26, s24
	s_cmp_ge_u32 s28, s20
	s_cselect_b32 s19, -1, 0
	s_cmp_eq_u32 s27, 0
	s_cselect_b32 s19, s19, -1
	s_cmp_lg_u32 s19, 0
	s_cselect_b32 s11, s11, s17
	s_cselect_b32 s10, s10, s18
	s_cbranch_execnz .LBB17_17
.LBB17_16:                              ;   in Loop: Header=BB17_3 Depth=1
	v_readfirstlane_b32 s10, v11
	s_mul_i32 s11, s23, s10
	s_mul_hi_u32 s11, s10, s11
	s_add_i32 s10, s10, s11
	s_mul_hi_u32 s10, s4, s10
	s_mul_i32 s17, s10, s20
	s_sub_i32 s17, s4, s17
	s_add_i32 s11, s10, 1
	s_sub_i32 s18, s17, s20
	s_cmp_ge_u32 s17, s20
	s_cselect_b32 s10, s11, s10
	s_cselect_b32 s17, s18, s17
	s_add_i32 s11, s10, 1
	s_cmp_ge_u32 s17, s20
	s_cselect_b32 s10, s11, s10
	s_mov_b32 s11, s16
.LBB17_17:                              ;   in Loop: Header=BB17_3 Depth=1
	s_and_b32 s17, s0, 0xffffff00
	v_mov_b32_e32 v18, s17
	v_mov_b32_e32 v19, s1
	v_cmp_lt_u64_e32 vcc, s[8:9], v[18:19]
	v_mov_b32_e32 v18, s8
	s_and_b64 s[0:1], vcc, exec
	s_mul_i32 s0, s11, s20
	s_mul_hi_u32 s1, s10, s20
	s_cselect_b32 s17, s8, s17
	s_add_i32 s1, s1, s0
	s_mul_i32 s0, s10, s20
	s_sub_u32 s0, s4, s0
	s_subb_u32 s1, s5, s1
	v_cmp_lt_u64_e32 vcc, s[8:9], v[7:8]
	s_cmp_lg_u64 s[0:1], 0
	s_cselect_b64 s[0:1], -1, 0
	v_cndmask_b32_e32 v6, v7, v18, vcc
	v_cndmask_b32_e64 v7, 0, 1, s[0:1]
	v_mov_b32_e32 v8, s11
	v_add_co_u32_e32 v19, vcc, s10, v7
	v_addc_co_u32_e32 v20, vcc, 0, v8, vcc
	v_and_b32_e32 v7, 0xff, v19
	v_mov_b32_e32 v8, v1
	v_cmp_eq_u64_e32 vcc, 0, v[7:8]
	v_cndmask_b32_e64 v7, v16, 0, vcc
	v_add_co_u32_e32 v7, vcc, v7, v19
	v_addc_co_u32_e32 v8, vcc, 0, v20, vcc
	v_and_b32_e32 v7, 0xffffff00, v7
	v_cmp_lt_u64_e32 vcc, s[8:9], v[7:8]
	v_cndmask_b32_e32 v19, v7, v18, vcc
	v_cmp_ge_i32_e32 vcc, s17, v19
	v_mov_b32_e32 v18, 0
	s_cbranch_vccnz .LBB17_28
; %bb.18:                               ;   in Loop: Header=BB17_3 Depth=1
	v_mad_u64_u32 v[7:8], s[0:1], v9, s20, 0
	v_mov_b32_e32 v18, 0
	v_mad_u64_u32 v[20:21], s[0:1], v10, s20, v[8:9]
	v_sub_co_u32_e32 v7, vcc, v17, v7
	v_subb_co_u32_e32 v8, vcc, v2, v20, vcc
	v_cmp_ne_u64_e32 vcc, 0, v[7:8]
	v_cndmask_b32_e64 v2, 0, 1, vcc
	v_add_co_u32_e32 v7, vcc, v9, v2
	v_addc_co_u32_e32 v8, vcc, 0, v10, vcc
	v_cmp_lt_u64_e32 vcc, s[8:9], v[7:8]
	v_mov_b32_e32 v2, s8
	v_cndmask_b32_e32 v2, v7, v2, vcc
.LBB17_19:                              ;   Parent Loop BB17_3 Depth=1
                                        ; =>  This Loop Header: Depth=2
                                        ;       Child Loop BB17_23 Depth 3
	v_add_u32_e32 v7, s17, v0
	v_ashrrev_i32_e32 v8, 31, v7
	v_cmp_gt_u64_e32 vcc, s[2:3], v[7:8]
	s_waitcnt vmcnt(0) lgkmcnt(0)
	s_barrier
	s_and_saveexec_b64 s[0:1], vcc
	s_cbranch_execz .LBB17_21
; %bb.20:                               ;   in Loop: Header=BB17_19 Depth=2
	v_lshlrev_b64 v[7:8], 2, v[7:8]
	v_mov_b32_e32 v9, s15
	v_add_co_u32_e32 v7, vcc, s14, v7
	v_addc_co_u32_e32 v8, vcc, v9, v8, vcc
	global_load_dword v7, v[7:8], off
	s_waitcnt vmcnt(0)
	v_subrev_u32_e32 v7, s22, v7
	ds_write_b32 v14, v7
.LBB17_21:                              ;   in Loop: Header=BB17_19 Depth=2
	s_or_b64 exec, exec, s[0:1]
	s_add_i32 s10, s17, 0x100
	v_max_i32_e32 v7, s17, v6
	v_min_i32_e32 v8, s10, v2
	v_cmp_lt_i32_e32 vcc, v7, v8
	s_waitcnt lgkmcnt(0)
	s_barrier
	s_and_saveexec_b64 s[0:1], vcc
	s_cbranch_execz .LBB17_25
; %bb.22:                               ;   in Loop: Header=BB17_19 Depth=2
	s_mov_b64 s[4:5], 0
.LBB17_23:                              ;   Parent Loop BB17_3 Depth=1
                                        ;     Parent Loop BB17_19 Depth=2
                                        ; =>    This Inner Loop Header: Depth=3
	v_subrev_u32_e32 v9, s17, v7
	v_mul_lo_u32 v10, v7, s20
	v_lshlrev_b32_e32 v9, 2, v9
	ds_read_b32 v9, v9
	v_add_u32_e32 v7, 1, v7
	v_sub_u32_e32 v10, v10, v5
	v_cmp_ge_i32_e32 vcc, v7, v8
	v_sub_u32_e32 v17, 0, v10
	s_or_b64 s[4:5], vcc, s[4:5]
	s_waitcnt lgkmcnt(0)
	v_lshlrev_b32_e32 v20, v10, v9
	v_lshrrev_b32_e32 v9, v17, v9
	v_cmp_lt_i32_e32 vcc, 0, v10
	v_cndmask_b32_e32 v9, v9, v20, vcc
	v_or_b32_e32 v18, v9, v18
	s_andn2_b64 exec, exec, s[4:5]
	s_cbranch_execnz .LBB17_23
; %bb.24:                               ;   in Loop: Header=BB17_19 Depth=2
	s_or_b64 exec, exec, s[4:5]
.LBB17_25:                              ;   in Loop: Header=BB17_19 Depth=2
	s_or_b64 exec, exec, s[0:1]
; %bb.26:                               ;   in Loop: Header=BB17_19 Depth=2
	v_cmp_lt_i32_e32 vcc, s10, v19
	s_cbranch_vccz .LBB17_28
; %bb.27:                               ;   in Loop: Header=BB17_19 Depth=2
	s_mov_b32 s17, s10
	s_branch .LBB17_19
.LBB17_28:                              ;   in Loop: Header=BB17_3 Depth=1
	v_ashrrev_i32_e32 v7, 31, v6
	v_cmp_gt_u64_e32 vcc, s[2:3], v[6:7]
	s_and_saveexec_b64 s[0:1], vcc
	s_cbranch_execz .LBB17_2
; %bb.29:                               ;   in Loop: Header=BB17_3 Depth=1
	v_lshlrev_b64 v[2:3], 2, v[3:4]
	v_mov_b32_e32 v4, s13
	v_add_co_u32_e32 v2, vcc, s12, v2
	v_addc_co_u32_e32 v3, vcc, v4, v3, vcc
	global_store_dword v[2:3], v18, off
	s_branch .LBB17_2
.LBB17_30:                              ;   in Loop: Header=BB17_3 Depth=1
                                        ; implicit-def: $sgpr0_sgpr1
	s_branch .LBB17_13
.LBB17_31:                              ;   in Loop: Header=BB17_3 Depth=1
                                        ; implicit-def: $sgpr10_sgpr11
	s_branch .LBB17_16
.LBB17_32:
	s_endpgm
	.section	.rodata,"a",@progbits
	.p2align	6, 0x0
	.amdhsa_kernel _Z13bitPackKernelIjjEvPKhPKT_PT0_S4_PKm
		.amdhsa_group_segment_fixed_size 1024
		.amdhsa_private_segment_fixed_size 0
		.amdhsa_kernarg_size 296
		.amdhsa_user_sgpr_count 6
		.amdhsa_user_sgpr_private_segment_buffer 1
		.amdhsa_user_sgpr_dispatch_ptr 0
		.amdhsa_user_sgpr_queue_ptr 0
		.amdhsa_user_sgpr_kernarg_segment_ptr 1
		.amdhsa_user_sgpr_dispatch_id 0
		.amdhsa_user_sgpr_flat_scratch_init 0
		.amdhsa_user_sgpr_private_segment_size 0
		.amdhsa_uses_dynamic_stack 0
		.amdhsa_system_sgpr_private_segment_wavefront_offset 0
		.amdhsa_system_sgpr_workgroup_id_x 1
		.amdhsa_system_sgpr_workgroup_id_y 0
		.amdhsa_system_sgpr_workgroup_id_z 0
		.amdhsa_system_sgpr_workgroup_info 0
		.amdhsa_system_vgpr_workitem_id 0
		.amdhsa_next_free_vgpr 24
		.amdhsa_next_free_sgpr 30
		.amdhsa_reserve_vcc 1
		.amdhsa_reserve_flat_scratch 0
		.amdhsa_float_round_mode_32 0
		.amdhsa_float_round_mode_16_64 0
		.amdhsa_float_denorm_mode_32 3
		.amdhsa_float_denorm_mode_16_64 3
		.amdhsa_dx10_clamp 1
		.amdhsa_ieee_mode 1
		.amdhsa_fp16_overflow 0
		.amdhsa_exception_fp_ieee_invalid_op 0
		.amdhsa_exception_fp_denorm_src 0
		.amdhsa_exception_fp_ieee_div_zero 0
		.amdhsa_exception_fp_ieee_overflow 0
		.amdhsa_exception_fp_ieee_underflow 0
		.amdhsa_exception_fp_ieee_inexact 0
		.amdhsa_exception_int_div_zero 0
	.end_amdhsa_kernel
	.section	.text._Z13bitPackKernelIjjEvPKhPKT_PT0_S4_PKm,"axG",@progbits,_Z13bitPackKernelIjjEvPKhPKT_PT0_S4_PKm,comdat
.Lfunc_end17:
	.size	_Z13bitPackKernelIjjEvPKhPKT_PT0_S4_PKm, .Lfunc_end17-_Z13bitPackKernelIjjEvPKhPKT_PT0_S4_PKm
                                        ; -- End function
	.set _Z13bitPackKernelIjjEvPKhPKT_PT0_S4_PKm.num_vgpr, 24
	.set _Z13bitPackKernelIjjEvPKhPKT_PT0_S4_PKm.num_agpr, 0
	.set _Z13bitPackKernelIjjEvPKhPKT_PT0_S4_PKm.numbered_sgpr, 30
	.set _Z13bitPackKernelIjjEvPKhPKT_PT0_S4_PKm.num_named_barrier, 0
	.set _Z13bitPackKernelIjjEvPKhPKT_PT0_S4_PKm.private_seg_size, 0
	.set _Z13bitPackKernelIjjEvPKhPKT_PT0_S4_PKm.uses_vcc, 1
	.set _Z13bitPackKernelIjjEvPKhPKT_PT0_S4_PKm.uses_flat_scratch, 0
	.set _Z13bitPackKernelIjjEvPKhPKT_PT0_S4_PKm.has_dyn_sized_stack, 0
	.set _Z13bitPackKernelIjjEvPKhPKT_PT0_S4_PKm.has_recursion, 0
	.set _Z13bitPackKernelIjjEvPKhPKT_PT0_S4_PKm.has_indirect_call, 0
	.section	.AMDGPU.csdata,"",@progbits
; Kernel info:
; codeLenInByte = 2708
; TotalNumSgprs: 34
; NumVgprs: 24
; ScratchSize: 0
; MemoryBound: 0
; FloatMode: 240
; IeeeMode: 1
; LDSByteSize: 1024 bytes/workgroup (compile time only)
; SGPRBlocks: 4
; VGPRBlocks: 5
; NumSGPRsForWavesPerEU: 34
; NumVGPRsForWavesPerEU: 24
; Occupancy: 10
; WaveLimiterHint : 0
; COMPUTE_PGM_RSRC2:SCRATCH_EN: 0
; COMPUTE_PGM_RSRC2:USER_SGPR: 6
; COMPUTE_PGM_RSRC2:TRAP_HANDLER: 0
; COMPUTE_PGM_RSRC2:TGID_X_EN: 1
; COMPUTE_PGM_RSRC2:TGID_Y_EN: 0
; COMPUTE_PGM_RSRC2:TGID_Z_EN: 0
; COMPUTE_PGM_RSRC2:TIDIG_COMP_CNT: 0
	.section	.text._Z23bitPackConfigScanKernelIxxEvPT_S1_PKT0_PKm,"axG",@progbits,_Z23bitPackConfigScanKernelIxxEvPT_S1_PKT0_PKm,comdat
	.protected	_Z23bitPackConfigScanKernelIxxEvPT_S1_PKT0_PKm ; -- Begin function _Z23bitPackConfigScanKernelIxxEvPT_S1_PKT0_PKm
	.globl	_Z23bitPackConfigScanKernelIxxEvPT_S1_PKT0_PKm
	.p2align	8
	.type	_Z23bitPackConfigScanKernelIxxEvPT_S1_PKT0_PKm,@function
_Z23bitPackConfigScanKernelIxxEvPT_S1_PKT0_PKm: ; @_Z23bitPackConfigScanKernelIxxEvPT_S1_PKT0_PKm
; %bb.0:
	s_load_dwordx8 s[8:15], s[4:5], 0x0
	s_waitcnt lgkmcnt(0)
	s_load_dwordx2 s[0:1], s[14:15], 0x0
	s_mov_b32 s15, 0
	s_waitcnt lgkmcnt(0)
	s_lshr_b64 s[2:3], s[0:1], 8
	s_and_b32 s14, s0, 0xff
	s_cmp_lg_u64 s[14:15], 0
	s_cselect_b64 s[14:15], -1, 0
	s_cmp_lg_u64 s[14:15], 0
	s_addc_u32 s14, s2, 0
	s_cmp_ge_u32 s6, s14
	s_cbranch_scc1 .LBB18_82
; %bb.1:
	s_cmp_lt_i32 s6, s14
	s_cbranch_scc1 .LBB18_83
; %bb.2:
	s_cbranch_execz .LBB18_84
; %bb.3:
	v_mov_b32_e32 v1, 0
	v_mov_b32_e32 v3, 0
	;; [unrolled: 1-line block ×4, first 2 shown]
	s_mov_b32 s7, 0
.LBB18_4:
	v_lshlrev_b32_e32 v5, 3, v0
	s_movk_i32 s0, 0x7f
	ds_write2st64_b64 v5, v[3:4], v[1:2] offset1:4
	v_cmp_lt_u32_e32 vcc, s0, v0
	v_add_u32_e32 v1, 0xfffffc00, v5
	s_waitcnt lgkmcnt(0)
	s_barrier
	s_and_saveexec_b64 s[0:1], vcc
	s_xor_b64 s[2:3], exec, s[0:1]
	s_cbranch_execz .LBB18_8
; %bb.5:
	v_cmp_gt_i32_e64 s[0:1], s7, v0
	s_and_saveexec_b64 s[4:5], s[0:1]
	s_cbranch_execz .LBB18_7
; %bb.6:
	ds_read_b64 v[2:3], v1
	ds_read_b64 v[6:7], v5
	s_waitcnt lgkmcnt(0)
	v_cmp_gt_i64_e64 s[0:1], v[2:3], v[6:7]
	v_cndmask_b32_e64 v3, v7, v3, s[0:1]
	v_cndmask_b32_e64 v2, v6, v2, s[0:1]
	ds_write_b64 v1, v[2:3]
.LBB18_7:
	s_or_b64 exec, exec, s[4:5]
.LBB18_8:
	s_or_saveexec_b64 s[2:3], s[2:3]
	v_add_u32_e32 v2, 0x800, v5
	s_xor_b64 exec, exec, s[2:3]
	s_cbranch_execz .LBB18_12
; %bb.9:
	v_or_b32_e32 v3, 0x80, v0
	v_cmp_gt_i32_e64 s[0:1], s7, v3
	s_and_saveexec_b64 s[4:5], s[0:1]
	s_cbranch_execz .LBB18_11
; %bb.10:
	ds_read2st64_b64 v[6:9], v2 offset1:2
	s_waitcnt lgkmcnt(0)
	v_cmp_lt_i64_e64 s[0:1], v[6:7], v[8:9]
	v_cndmask_b32_e64 v4, v9, v7, s[0:1]
	v_cndmask_b32_e64 v3, v8, v6, s[0:1]
	ds_write_b64 v2, v[3:4]
.LBB18_11:
	s_or_b64 exec, exec, s[4:5]
.LBB18_12:
	s_or_b64 exec, exec, s[2:3]
	s_waitcnt lgkmcnt(0)
	s_barrier
	s_and_saveexec_b64 s[0:1], vcc
	s_xor_b64 s[2:3], exec, s[0:1]
	s_cbranch_execz .LBB18_17
; %bb.13:
	s_movk_i32 s0, 0xc0
	v_cmp_gt_u32_e64 s[0:1], s0, v0
	s_and_saveexec_b64 s[4:5], s[0:1]
	s_cbranch_execz .LBB18_16
; %bb.14:
	v_subrev_u32_e32 v3, 64, v0
	v_cmp_gt_i32_e64 s[0:1], s7, v3
	s_and_b64 exec, exec, s[0:1]
	s_cbranch_execz .LBB18_16
; %bb.15:
	v_add_u32_e32 v6, 0xfffffe00, v5
	ds_read_b64 v[3:4], v1
	ds_read_b64 v[6:7], v6
	s_waitcnt lgkmcnt(0)
	v_cmp_gt_i64_e64 s[0:1], v[3:4], v[6:7]
	v_cndmask_b32_e64 v4, v7, v4, s[0:1]
	v_cndmask_b32_e64 v3, v6, v3, s[0:1]
	ds_write_b64 v1, v[3:4]
.LBB18_16:
	s_or_b64 exec, exec, s[4:5]
.LBB18_17:
	s_andn2_saveexec_b64 s[2:3], s[2:3]
	s_cbranch_execz .LBB18_22
; %bb.18:
	v_cmp_gt_u32_e64 s[0:1], 64, v0
	s_and_saveexec_b64 s[4:5], s[0:1]
	s_cbranch_execz .LBB18_21
; %bb.19:
	v_or_b32_e32 v3, 64, v0
	v_cmp_gt_i32_e64 s[0:1], s7, v3
	s_and_b64 exec, exec, s[0:1]
	s_cbranch_execz .LBB18_21
; %bb.20:
	ds_read2st64_b64 v[6:9], v2 offset1:1
	s_waitcnt lgkmcnt(0)
	v_cmp_lt_i64_e64 s[0:1], v[6:7], v[8:9]
	v_cndmask_b32_e64 v4, v9, v7, s[0:1]
	v_cndmask_b32_e64 v3, v8, v6, s[0:1]
	ds_write_b64 v2, v[3:4]
.LBB18_21:
	s_or_b64 exec, exec, s[4:5]
.LBB18_22:
	s_or_b64 exec, exec, s[2:3]
	s_waitcnt lgkmcnt(0)
	s_barrier
	s_and_saveexec_b64 s[0:1], vcc
	s_xor_b64 s[2:3], exec, s[0:1]
	s_cbranch_execz .LBB18_27
; %bb.23:
	s_movk_i32 s0, 0xa0
	v_cmp_gt_u32_e64 s[0:1], s0, v0
	s_and_saveexec_b64 s[4:5], s[0:1]
	s_cbranch_execz .LBB18_26
; %bb.24:
	v_add_u32_e32 v3, 0xffffffa0, v0
	v_cmp_gt_i32_e64 s[0:1], s7, v3
	s_and_b64 exec, exec, s[0:1]
	s_cbranch_execz .LBB18_26
; %bb.25:
	v_add_u32_e32 v6, 0xfffffd00, v5
	ds_read_b64 v[3:4], v1
	ds_read_b64 v[6:7], v6
	s_waitcnt lgkmcnt(0)
	v_cmp_gt_i64_e64 s[0:1], v[3:4], v[6:7]
	v_cndmask_b32_e64 v4, v7, v4, s[0:1]
	v_cndmask_b32_e64 v3, v6, v3, s[0:1]
	ds_write_b64 v1, v[3:4]
.LBB18_26:
	s_or_b64 exec, exec, s[4:5]
.LBB18_27:
	s_andn2_saveexec_b64 s[2:3], s[2:3]
	s_cbranch_execz .LBB18_32
; %bb.28:
	v_cmp_gt_u32_e64 s[0:1], 32, v0
	s_and_saveexec_b64 s[4:5], s[0:1]
	s_cbranch_execz .LBB18_31
; %bb.29:
	v_or_b32_e32 v3, 32, v0
	v_cmp_gt_i32_e64 s[0:1], s7, v3
	s_and_b64 exec, exec, s[0:1]
	s_cbranch_execz .LBB18_31
; %bb.30:
	ds_read2_b64 v[6:9], v2 offset1:32
	s_waitcnt lgkmcnt(0)
	v_cmp_lt_i64_e64 s[0:1], v[6:7], v[8:9]
	v_cndmask_b32_e64 v4, v9, v7, s[0:1]
	v_cndmask_b32_e64 v3, v8, v6, s[0:1]
	ds_write_b64 v2, v[3:4]
.LBB18_31:
	s_or_b64 exec, exec, s[4:5]
.LBB18_32:
	s_or_b64 exec, exec, s[2:3]
	s_waitcnt lgkmcnt(0)
	s_barrier
	s_and_saveexec_b64 s[0:1], vcc
	s_xor_b64 s[2:3], exec, s[0:1]
	s_cbranch_execz .LBB18_37
; %bb.33:
	s_movk_i32 s0, 0x90
	v_cmp_gt_u32_e64 s[0:1], s0, v0
	s_and_saveexec_b64 s[4:5], s[0:1]
	s_cbranch_execz .LBB18_36
; %bb.34:
	v_add_u32_e32 v3, 0xffffff90, v0
	v_cmp_gt_i32_e64 s[0:1], s7, v3
	s_and_b64 exec, exec, s[0:1]
	s_cbranch_execz .LBB18_36
; %bb.35:
	v_add_u32_e32 v6, 0xfffffc80, v5
	ds_read_b64 v[3:4], v1
	ds_read_b64 v[6:7], v6
	s_waitcnt lgkmcnt(0)
	v_cmp_gt_i64_e64 s[0:1], v[3:4], v[6:7]
	v_cndmask_b32_e64 v4, v7, v4, s[0:1]
	v_cndmask_b32_e64 v3, v6, v3, s[0:1]
	ds_write_b64 v1, v[3:4]
.LBB18_36:
	s_or_b64 exec, exec, s[4:5]
.LBB18_37:
	s_andn2_saveexec_b64 s[2:3], s[2:3]
	s_cbranch_execz .LBB18_42
; %bb.38:
	v_cmp_gt_u32_e64 s[0:1], 16, v0
	s_and_saveexec_b64 s[4:5], s[0:1]
	s_cbranch_execz .LBB18_41
; %bb.39:
	v_or_b32_e32 v3, 16, v0
	v_cmp_gt_i32_e64 s[0:1], s7, v3
	s_and_b64 exec, exec, s[0:1]
	s_cbranch_execz .LBB18_41
; %bb.40:
	ds_read2_b64 v[6:9], v2 offset1:16
	s_waitcnt lgkmcnt(0)
	v_cmp_lt_i64_e64 s[0:1], v[6:7], v[8:9]
	v_cndmask_b32_e64 v4, v9, v7, s[0:1]
	v_cndmask_b32_e64 v3, v8, v6, s[0:1]
	ds_write_b64 v2, v[3:4]
.LBB18_41:
	s_or_b64 exec, exec, s[4:5]
.LBB18_42:
	;; [unrolled: 49-line block ×5, first 2 shown]
	s_or_b64 exec, exec, s[2:3]
	s_cmp_gt_i32 s7, 1
	s_cselect_b64 s[0:1], -1, 0
	s_waitcnt lgkmcnt(0)
	s_barrier
	s_and_saveexec_b64 s[2:3], vcc
	s_xor_b64 s[2:3], exec, s[2:3]
	s_cbranch_execz .LBB18_76
; %bb.73:
	s_movk_i32 s4, 0x80
	v_cmp_eq_u32_e32 vcc, s4, v0
	s_and_b64 s[12:13], vcc, s[0:1]
	s_and_saveexec_b64 s[4:5], s[12:13]
	s_cbranch_execz .LBB18_75
; %bb.74:
	v_mov_b32_e32 v4, 0
	ds_read_b64 v[2:3], v1
	ds_read_b64 v[4:5], v4 offset:8
	s_waitcnt lgkmcnt(0)
	v_cmp_gt_i64_e32 vcc, v[2:3], v[4:5]
	v_cndmask_b32_e32 v3, v5, v3, vcc
	v_cndmask_b32_e32 v2, v4, v2, vcc
	ds_write_b64 v1, v[2:3]
.LBB18_75:
	s_or_b64 exec, exec, s[4:5]
                                        ; implicit-def: $vgpr2
.LBB18_76:
	s_andn2_saveexec_b64 s[2:3], s[2:3]
	s_cbranch_execz .LBB18_80
; %bb.77:
	v_cmp_eq_u32_e32 vcc, 0, v0
	s_and_b64 s[4:5], vcc, s[0:1]
	s_and_saveexec_b64 s[0:1], s[4:5]
	s_cbranch_execz .LBB18_79
; %bb.78:
	v_mov_b32_e32 v1, 0
	ds_read_b64 v[3:4], v2
	ds_read_b64 v[5:6], v1 offset:2056
	s_waitcnt lgkmcnt(0)
	v_cmp_lt_i64_e32 vcc, v[3:4], v[5:6]
	v_cndmask_b32_e32 v4, v6, v4, vcc
	v_cndmask_b32_e32 v3, v5, v3, vcc
	ds_write_b64 v2, v[3:4]
.LBB18_79:
	s_or_b64 exec, exec, s[0:1]
.LBB18_80:
	s_or_b64 exec, exec, s[2:3]
	s_mov_b32 s7, 0
	v_cmp_eq_u32_e32 vcc, 0, v0
	s_waitcnt lgkmcnt(0)
	s_barrier
	s_and_saveexec_b64 s[0:1], vcc
	s_cbranch_execz .LBB18_82
; %bb.81:
	v_mov_b32_e32 v4, 0
	s_lshl_b64 s[0:1], s[6:7], 3
	ds_read2st64_b64 v[0:3], v4 offset1:4
	s_add_u32 s2, s10, s0
	s_addc_u32 s3, s11, s1
	s_add_u32 s0, s8, s0
	s_addc_u32 s1, s9, s1
	s_waitcnt lgkmcnt(0)
	global_store_dwordx2 v4, v[2:3], s[0:1]
	global_store_dwordx2 v4, v[0:1], s[2:3]
.LBB18_82:
	s_endpgm
.LBB18_83:
.LBB18_84:
	s_load_dword s4, s[4:5], 0x20
	s_lshl_b32 s1, s6, 8
	v_mov_b32_e32 v1, 0
	v_mov_b32_e32 v3, 0
	;; [unrolled: 1-line block ×3, first 2 shown]
	v_add_u32_e32 v5, s1, v0
	s_sub_i32 s5, s0, s1
	s_waitcnt lgkmcnt(0)
	s_lshl_b32 s15, s4, 8
	s_mov_b32 s16, 0
	v_mov_b32_e32 v6, 0
	v_mov_b32_e32 v4, 0
	s_mov_b32 s7, 0
	s_branch .LBB18_86
.LBB18_85:                              ;   in Loop: Header=BB18_86 Depth=1
	s_or_b64 exec, exec, s[2:3]
	s_add_i32 s16, s16, s4
	s_max_i32 s7, s7, s17
	s_add_i32 s0, s6, s16
	s_sub_i32 s5, s5, s15
	s_cmp_ge_i32 s0, s14
	v_add_u32_e32 v5, s15, v5
	s_cbranch_scc1 .LBB18_4
.LBB18_86:                              ; =>This Inner Loop Header: Depth=1
	s_min_i32 s17, s5, 0x100
	v_cmp_gt_u32_e32 vcc, s17, v0
	s_and_saveexec_b64 s[2:3], vcc
	s_cbranch_execz .LBB18_85
; %bb.87:                               ;   in Loop: Header=BB18_86 Depth=1
	v_lshlrev_b64 v[7:8], 3, v[5:6]
	v_mov_b32_e32 v9, s13
	v_add_co_u32_e32 v7, vcc, s12, v7
	v_addc_co_u32_e32 v8, vcc, v9, v8, vcc
	global_load_dwordx2 v[7:8], v[7:8], off
	s_cmp_eq_u32 s16, 0
	s_waitcnt vmcnt(0)
	v_cmp_lt_i64_e32 vcc, v[7:8], v[1:2]
	v_cmp_gt_i64_e64 s[0:1], v[7:8], v[3:4]
	v_cndmask_b32_e32 v1, v1, v7, vcc
	v_cndmask_b32_e64 v3, v3, v7, s[0:1]
	v_cndmask_b32_e32 v2, v2, v8, vcc
	v_cndmask_b32_e64 v4, v4, v8, s[0:1]
	s_cselect_b64 vcc, -1, 0
	v_cndmask_b32_e32 v4, v4, v8, vcc
	v_cndmask_b32_e32 v3, v3, v7, vcc
	;; [unrolled: 1-line block ×4, first 2 shown]
	s_branch .LBB18_85
	.section	.rodata,"a",@progbits
	.p2align	6, 0x0
	.amdhsa_kernel _Z23bitPackConfigScanKernelIxxEvPT_S1_PKT0_PKm
		.amdhsa_group_segment_fixed_size 4096
		.amdhsa_private_segment_fixed_size 0
		.amdhsa_kernarg_size 288
		.amdhsa_user_sgpr_count 6
		.amdhsa_user_sgpr_private_segment_buffer 1
		.amdhsa_user_sgpr_dispatch_ptr 0
		.amdhsa_user_sgpr_queue_ptr 0
		.amdhsa_user_sgpr_kernarg_segment_ptr 1
		.amdhsa_user_sgpr_dispatch_id 0
		.amdhsa_user_sgpr_flat_scratch_init 0
		.amdhsa_user_sgpr_private_segment_size 0
		.amdhsa_uses_dynamic_stack 0
		.amdhsa_system_sgpr_private_segment_wavefront_offset 0
		.amdhsa_system_sgpr_workgroup_id_x 1
		.amdhsa_system_sgpr_workgroup_id_y 0
		.amdhsa_system_sgpr_workgroup_id_z 0
		.amdhsa_system_sgpr_workgroup_info 0
		.amdhsa_system_vgpr_workitem_id 0
		.amdhsa_next_free_vgpr 29
		.amdhsa_next_free_sgpr 61
		.amdhsa_reserve_vcc 1
		.amdhsa_reserve_flat_scratch 0
		.amdhsa_float_round_mode_32 0
		.amdhsa_float_round_mode_16_64 0
		.amdhsa_float_denorm_mode_32 3
		.amdhsa_float_denorm_mode_16_64 3
		.amdhsa_dx10_clamp 1
		.amdhsa_ieee_mode 1
		.amdhsa_fp16_overflow 0
		.amdhsa_exception_fp_ieee_invalid_op 0
		.amdhsa_exception_fp_denorm_src 0
		.amdhsa_exception_fp_ieee_div_zero 0
		.amdhsa_exception_fp_ieee_overflow 0
		.amdhsa_exception_fp_ieee_underflow 0
		.amdhsa_exception_fp_ieee_inexact 0
		.amdhsa_exception_int_div_zero 0
	.end_amdhsa_kernel
	.section	.text._Z23bitPackConfigScanKernelIxxEvPT_S1_PKT0_PKm,"axG",@progbits,_Z23bitPackConfigScanKernelIxxEvPT_S1_PKT0_PKm,comdat
.Lfunc_end18:
	.size	_Z23bitPackConfigScanKernelIxxEvPT_S1_PKT0_PKm, .Lfunc_end18-_Z23bitPackConfigScanKernelIxxEvPT_S1_PKT0_PKm
                                        ; -- End function
	.set _Z23bitPackConfigScanKernelIxxEvPT_S1_PKT0_PKm.num_vgpr, 10
	.set _Z23bitPackConfigScanKernelIxxEvPT_S1_PKT0_PKm.num_agpr, 0
	.set _Z23bitPackConfigScanKernelIxxEvPT_S1_PKT0_PKm.numbered_sgpr, 18
	.set _Z23bitPackConfigScanKernelIxxEvPT_S1_PKT0_PKm.num_named_barrier, 0
	.set _Z23bitPackConfigScanKernelIxxEvPT_S1_PKT0_PKm.private_seg_size, 0
	.set _Z23bitPackConfigScanKernelIxxEvPT_S1_PKT0_PKm.uses_vcc, 1
	.set _Z23bitPackConfigScanKernelIxxEvPT_S1_PKT0_PKm.uses_flat_scratch, 0
	.set _Z23bitPackConfigScanKernelIxxEvPT_S1_PKT0_PKm.has_dyn_sized_stack, 0
	.set _Z23bitPackConfigScanKernelIxxEvPT_S1_PKT0_PKm.has_recursion, 0
	.set _Z23bitPackConfigScanKernelIxxEvPT_S1_PKT0_PKm.has_indirect_call, 0
	.section	.AMDGPU.csdata,"",@progbits
; Kernel info:
; codeLenInByte = 2112
; TotalNumSgprs: 22
; NumVgprs: 10
; ScratchSize: 0
; MemoryBound: 0
; FloatMode: 240
; IeeeMode: 1
; LDSByteSize: 4096 bytes/workgroup (compile time only)
; SGPRBlocks: 8
; VGPRBlocks: 7
; NumSGPRsForWavesPerEU: 65
; NumVGPRsForWavesPerEU: 29
; Occupancy: 8
; WaveLimiterHint : 0
; COMPUTE_PGM_RSRC2:SCRATCH_EN: 0
; COMPUTE_PGM_RSRC2:USER_SGPR: 6
; COMPUTE_PGM_RSRC2:TRAP_HANDLER: 0
; COMPUTE_PGM_RSRC2:TGID_X_EN: 1
; COMPUTE_PGM_RSRC2:TGID_Y_EN: 0
; COMPUTE_PGM_RSRC2:TGID_Z_EN: 0
; COMPUTE_PGM_RSRC2:TIDIG_COMP_CNT: 0
	.section	.text._Z27bitPackConfigFinalizeKernelIxxEvPKT_S2_PhPT0_PKm,"axG",@progbits,_Z27bitPackConfigFinalizeKernelIxxEvPKT_S2_PhPT0_PKm,comdat
	.protected	_Z27bitPackConfigFinalizeKernelIxxEvPKT_S2_PhPT0_PKm ; -- Begin function _Z27bitPackConfigFinalizeKernelIxxEvPKT_S2_PhPT0_PKm
	.globl	_Z27bitPackConfigFinalizeKernelIxxEvPKT_S2_PhPT0_PKm
	.p2align	8
	.type	_Z27bitPackConfigFinalizeKernelIxxEvPKT_S2_PhPT0_PKm,@function
_Z27bitPackConfigFinalizeKernelIxxEvPKT_S2_PhPT0_PKm: ; @_Z27bitPackConfigFinalizeKernelIxxEvPKT_S2_PhPT0_PKm
; %bb.0:
	s_load_dwordx2 s[0:1], s[4:5], 0x20
	s_mov_b32 s3, 0
	s_load_dwordx8 s[8:15], s[4:5], 0x0
	v_mov_b32_e32 v3, 0x1000
	v_lshlrev_b32_e32 v11, 3, v0
	s_waitcnt lgkmcnt(0)
	s_load_dwordx2 s[0:1], s[0:1], 0x0
	s_waitcnt lgkmcnt(0)
	s_lshr_b64 s[4:5], s[0:1], 8
	s_and_b32 s2, s0, 0xff
	s_cmp_lg_u64 s[2:3], 0
	s_cselect_b64 s[0:1], -1, 0
	v_cndmask_b32_e64 v1, 0, 1, s[0:1]
	v_mov_b32_e32 v2, s5
	v_add_co_u32_e32 v1, vcc, s4, v1
	v_addc_co_u32_e32 v2, vcc, 0, v2, vcc
	s_mov_b64 s[0:1], 0x1000
	v_cmp_gt_u64_e32 vcc, s[0:1], v[1:2]
	v_cndmask_b32_e32 v12, v3, v1, vcc
	v_cmp_lt_u32_e32 vcc, v0, v12
	s_and_saveexec_b64 s[4:5], vcc
	s_cbranch_execz .LBB19_6
; %bb.1:
	global_load_dwordx2 v[3:4], v11, s[8:9]
	global_load_dwordx2 v[5:6], v11, s[10:11]
	v_add_u32_e32 v13, 0x100, v0
	v_cmp_lt_u32_e32 vcc, v13, v12
	s_and_saveexec_b64 s[6:7], vcc
	s_cbranch_execz .LBB19_5
; %bb.2:
	v_add_co_u32_e32 v9, vcc, 0x800, v11
	v_addc_co_u32_e64 v10, s[0:1], 0, 0, vcc
	v_mov_b32_e32 v8, s9
	v_add_co_u32_e32 v7, vcc, s8, v9
	v_addc_co_u32_e32 v8, vcc, v8, v10, vcc
	v_mov_b32_e32 v14, s11
	v_add_co_u32_e32 v9, vcc, s10, v9
	v_addc_co_u32_e32 v10, vcc, v14, v10, vcc
	s_mov_b64 s[8:9], 0
	s_movk_i32 s10, 0xeff
.LBB19_3:                               ; =>This Inner Loop Header: Depth=1
	global_load_dwordx2 v[14:15], v[7:8], off
	global_load_dwordx2 v[16:17], v[9:10], off
	v_add_u32_e32 v18, 0x100, v13
	v_add_co_u32_e32 v7, vcc, 0x800, v7
	v_cmp_lt_u32_e64 s[0:1], s10, v13
	v_cmp_ge_u32_e64 s[2:3], v18, v12
	v_addc_co_u32_e32 v8, vcc, 0, v8, vcc
	v_add_co_u32_e32 v9, vcc, 0x800, v9
	s_or_b64 s[0:1], s[0:1], s[2:3]
	v_addc_co_u32_e32 v10, vcc, 0, v10, vcc
	s_and_b64 s[0:1], exec, s[0:1]
	s_or_b64 s[8:9], s[0:1], s[8:9]
	v_mov_b32_e32 v13, v18
	s_waitcnt vmcnt(1)
	v_cmp_lt_i64_e32 vcc, v[14:15], v[3:4]
	s_waitcnt vmcnt(0)
	v_cmp_gt_i64_e64 s[0:1], v[16:17], v[5:6]
	v_cndmask_b32_e32 v4, v4, v15, vcc
	v_cndmask_b32_e64 v6, v6, v17, s[0:1]
	v_cndmask_b32_e32 v3, v3, v14, vcc
	v_cndmask_b32_e64 v5, v5, v16, s[0:1]
	s_andn2_b64 exec, exec, s[8:9]
	s_cbranch_execnz .LBB19_3
; %bb.4:
	s_or_b64 exec, exec, s[8:9]
.LBB19_5:
	s_or_b64 exec, exec, s[6:7]
	s_waitcnt vmcnt(0)
	ds_write2st64_b64 v11, v[5:6], v[3:4] offset1:4
.LBB19_6:
	s_or_b64 exec, exec, s[4:5]
	s_movk_i32 s0, 0x7f
	v_min_u32_e32 v5, 0x100, v12
	v_cmp_lt_u32_e32 vcc, s0, v0
	v_add_u32_e32 v3, 0xfffffc00, v11
	s_waitcnt lgkmcnt(0)
	s_barrier
	s_and_saveexec_b64 s[0:1], vcc
	s_xor_b64 s[2:3], exec, s[0:1]
	s_cbranch_execz .LBB19_10
; %bb.7:
	v_cmp_lt_u32_e64 s[0:1], v0, v5
	s_and_saveexec_b64 s[4:5], s[0:1]
	s_cbranch_execz .LBB19_9
; %bb.8:
	ds_read_b64 v[6:7], v3
	ds_read_b64 v[8:9], v11
	s_waitcnt lgkmcnt(0)
	v_cmp_gt_i64_e64 s[0:1], v[6:7], v[8:9]
	v_cndmask_b32_e64 v7, v9, v7, s[0:1]
	v_cndmask_b32_e64 v6, v8, v6, s[0:1]
	ds_write_b64 v3, v[6:7]
.LBB19_9:
	s_or_b64 exec, exec, s[4:5]
.LBB19_10:
	s_or_saveexec_b64 s[2:3], s[2:3]
	v_add_u32_e32 v4, 0x800, v11
	s_xor_b64 exec, exec, s[2:3]
	s_cbranch_execz .LBB19_14
; %bb.11:
	v_or_b32_e32 v6, 0x80, v0
	v_cmp_lt_u32_e64 s[0:1], v6, v5
	s_and_saveexec_b64 s[4:5], s[0:1]
	s_cbranch_execz .LBB19_13
; %bb.12:
	ds_read2st64_b64 v[6:9], v4 offset1:2
	s_waitcnt lgkmcnt(0)
	v_cmp_lt_i64_e64 s[0:1], v[6:7], v[8:9]
	v_cndmask_b32_e64 v7, v9, v7, s[0:1]
	v_cndmask_b32_e64 v6, v8, v6, s[0:1]
	ds_write_b64 v4, v[6:7]
.LBB19_13:
	s_or_b64 exec, exec, s[4:5]
.LBB19_14:
	s_or_b64 exec, exec, s[2:3]
	s_waitcnt lgkmcnt(0)
	s_barrier
	s_and_saveexec_b64 s[0:1], vcc
	s_xor_b64 s[2:3], exec, s[0:1]
	s_cbranch_execz .LBB19_19
; %bb.15:
	s_movk_i32 s0, 0xc0
	v_cmp_gt_u32_e64 s[0:1], s0, v0
	s_and_saveexec_b64 s[4:5], s[0:1]
	s_cbranch_execz .LBB19_18
; %bb.16:
	v_subrev_u32_e32 v6, 64, v0
	v_cmp_lt_u32_e64 s[0:1], v6, v5
	s_and_b64 exec, exec, s[0:1]
	s_cbranch_execz .LBB19_18
; %bb.17:
	v_add_u32_e32 v8, 0xfffffe00, v11
	ds_read_b64 v[6:7], v3
	ds_read_b64 v[8:9], v8
	s_waitcnt lgkmcnt(0)
	v_cmp_gt_i64_e64 s[0:1], v[6:7], v[8:9]
	v_cndmask_b32_e64 v7, v9, v7, s[0:1]
	v_cndmask_b32_e64 v6, v8, v6, s[0:1]
	ds_write_b64 v3, v[6:7]
.LBB19_18:
	s_or_b64 exec, exec, s[4:5]
.LBB19_19:
	s_andn2_saveexec_b64 s[2:3], s[2:3]
	s_cbranch_execz .LBB19_24
; %bb.20:
	v_cmp_gt_u32_e64 s[0:1], 64, v0
	s_and_saveexec_b64 s[4:5], s[0:1]
	s_cbranch_execz .LBB19_23
; %bb.21:
	v_or_b32_e32 v6, 64, v0
	v_cmp_lt_u32_e64 s[0:1], v6, v5
	s_and_b64 exec, exec, s[0:1]
	s_cbranch_execz .LBB19_23
; %bb.22:
	ds_read2st64_b64 v[6:9], v4 offset1:1
	s_waitcnt lgkmcnt(0)
	v_cmp_lt_i64_e64 s[0:1], v[6:7], v[8:9]
	v_cndmask_b32_e64 v7, v9, v7, s[0:1]
	v_cndmask_b32_e64 v6, v8, v6, s[0:1]
	ds_write_b64 v4, v[6:7]
.LBB19_23:
	s_or_b64 exec, exec, s[4:5]
.LBB19_24:
	s_or_b64 exec, exec, s[2:3]
	s_waitcnt lgkmcnt(0)
	s_barrier
	s_and_saveexec_b64 s[0:1], vcc
	s_xor_b64 s[2:3], exec, s[0:1]
	s_cbranch_execz .LBB19_29
; %bb.25:
	s_movk_i32 s0, 0xa0
	v_cmp_gt_u32_e64 s[0:1], s0, v0
	s_and_saveexec_b64 s[4:5], s[0:1]
	s_cbranch_execz .LBB19_28
; %bb.26:
	v_add_u32_e32 v6, 0xffffffa0, v0
	v_cmp_lt_u32_e64 s[0:1], v6, v5
	s_and_b64 exec, exec, s[0:1]
	s_cbranch_execz .LBB19_28
; %bb.27:
	v_add_u32_e32 v8, 0xfffffd00, v11
	ds_read_b64 v[6:7], v3
	ds_read_b64 v[8:9], v8
	s_waitcnt lgkmcnt(0)
	v_cmp_gt_i64_e64 s[0:1], v[6:7], v[8:9]
	v_cndmask_b32_e64 v7, v9, v7, s[0:1]
	v_cndmask_b32_e64 v6, v8, v6, s[0:1]
	ds_write_b64 v3, v[6:7]
.LBB19_28:
	s_or_b64 exec, exec, s[4:5]
.LBB19_29:
	s_andn2_saveexec_b64 s[2:3], s[2:3]
	s_cbranch_execz .LBB19_34
; %bb.30:
	v_cmp_gt_u32_e64 s[0:1], 32, v0
	s_and_saveexec_b64 s[4:5], s[0:1]
	s_cbranch_execz .LBB19_33
; %bb.31:
	v_or_b32_e32 v6, 32, v0
	v_cmp_lt_u32_e64 s[0:1], v6, v5
	s_and_b64 exec, exec, s[0:1]
	s_cbranch_execz .LBB19_33
; %bb.32:
	ds_read2_b64 v[6:9], v4 offset1:32
	s_waitcnt lgkmcnt(0)
	v_cmp_lt_i64_e64 s[0:1], v[6:7], v[8:9]
	v_cndmask_b32_e64 v7, v9, v7, s[0:1]
	v_cndmask_b32_e64 v6, v8, v6, s[0:1]
	ds_write_b64 v4, v[6:7]
.LBB19_33:
	s_or_b64 exec, exec, s[4:5]
.LBB19_34:
	s_or_b64 exec, exec, s[2:3]
	s_waitcnt lgkmcnt(0)
	s_barrier
	s_and_saveexec_b64 s[0:1], vcc
	s_xor_b64 s[2:3], exec, s[0:1]
	s_cbranch_execz .LBB19_39
; %bb.35:
	s_movk_i32 s0, 0x90
	v_cmp_gt_u32_e64 s[0:1], s0, v0
	s_and_saveexec_b64 s[4:5], s[0:1]
	s_cbranch_execz .LBB19_38
; %bb.36:
	v_add_u32_e32 v6, 0xffffff90, v0
	v_cmp_lt_u32_e64 s[0:1], v6, v5
	s_and_b64 exec, exec, s[0:1]
	s_cbranch_execz .LBB19_38
; %bb.37:
	v_add_u32_e32 v8, 0xfffffc80, v11
	ds_read_b64 v[6:7], v3
	ds_read_b64 v[8:9], v8
	s_waitcnt lgkmcnt(0)
	v_cmp_gt_i64_e64 s[0:1], v[6:7], v[8:9]
	v_cndmask_b32_e64 v7, v9, v7, s[0:1]
	v_cndmask_b32_e64 v6, v8, v6, s[0:1]
	ds_write_b64 v3, v[6:7]
.LBB19_38:
	s_or_b64 exec, exec, s[4:5]
.LBB19_39:
	s_andn2_saveexec_b64 s[2:3], s[2:3]
	s_cbranch_execz .LBB19_44
; %bb.40:
	v_cmp_gt_u32_e64 s[0:1], 16, v0
	s_and_saveexec_b64 s[4:5], s[0:1]
	s_cbranch_execz .LBB19_43
; %bb.41:
	v_or_b32_e32 v6, 16, v0
	v_cmp_lt_u32_e64 s[0:1], v6, v5
	s_and_b64 exec, exec, s[0:1]
	s_cbranch_execz .LBB19_43
; %bb.42:
	ds_read2_b64 v[6:9], v4 offset1:16
	s_waitcnt lgkmcnt(0)
	v_cmp_lt_i64_e64 s[0:1], v[6:7], v[8:9]
	v_cndmask_b32_e64 v7, v9, v7, s[0:1]
	v_cndmask_b32_e64 v6, v8, v6, s[0:1]
	ds_write_b64 v4, v[6:7]
.LBB19_43:
	s_or_b64 exec, exec, s[4:5]
.LBB19_44:
	;; [unrolled: 49-line block ×4, first 2 shown]
	s_or_b64 exec, exec, s[2:3]
	s_waitcnt lgkmcnt(0)
	s_barrier
	s_and_saveexec_b64 s[0:1], vcc
	s_xor_b64 s[2:3], exec, s[0:1]
	s_cbranch_execz .LBB19_69
; %bb.65:
	s_movk_i32 s0, 0x82
	v_cmp_gt_u32_e64 s[0:1], s0, v0
	s_and_saveexec_b64 s[4:5], s[0:1]
	s_cbranch_execz .LBB19_68
; %bb.66:
	v_add_u32_e32 v6, 0xffffff82, v0
	v_cmp_lt_u32_e64 s[0:1], v6, v5
	s_and_b64 exec, exec, s[0:1]
	s_cbranch_execz .LBB19_68
; %bb.67:
	v_add_u32_e32 v7, 0xfffffc10, v11
	ds_read_b64 v[5:6], v3
	ds_read_b64 v[7:8], v7
	s_waitcnt lgkmcnt(0)
	v_cmp_gt_i64_e64 s[0:1], v[5:6], v[7:8]
	v_cndmask_b32_e64 v6, v8, v6, s[0:1]
	v_cndmask_b32_e64 v5, v7, v5, s[0:1]
	ds_write_b64 v3, v[5:6]
.LBB19_68:
	s_or_b64 exec, exec, s[4:5]
                                        ; implicit-def: $vgpr5
.LBB19_69:
	s_andn2_saveexec_b64 s[2:3], s[2:3]
	s_cbranch_execz .LBB19_74
; %bb.70:
	v_cmp_gt_u32_e64 s[0:1], 2, v0
	s_and_saveexec_b64 s[4:5], s[0:1]
	s_cbranch_execz .LBB19_73
; %bb.71:
	v_or_b32_e32 v6, 2, v0
	v_cmp_lt_u32_e64 s[0:1], v6, v5
	s_and_b64 exec, exec, s[0:1]
	s_cbranch_execz .LBB19_73
; %bb.72:
	ds_read2_b64 v[5:8], v4 offset1:2
	s_waitcnt lgkmcnt(0)
	v_cmp_lt_i64_e64 s[0:1], v[5:6], v[7:8]
	v_cndmask_b32_e64 v6, v8, v6, s[0:1]
	v_cndmask_b32_e64 v5, v7, v5, s[0:1]
	ds_write_b64 v4, v[5:6]
.LBB19_73:
	s_or_b64 exec, exec, s[4:5]
.LBB19_74:
	s_or_b64 exec, exec, s[2:3]
	v_cmp_lt_u64_e64 s[0:1], 1, v[1:2]
	s_waitcnt lgkmcnt(0)
	s_barrier
	s_and_saveexec_b64 s[2:3], vcc
	s_xor_b64 s[2:3], exec, s[2:3]
	s_cbranch_execz .LBB19_78
; %bb.75:
	s_movk_i32 s4, 0x80
	v_cmp_eq_u32_e32 vcc, s4, v0
	s_and_b64 s[6:7], vcc, s[0:1]
	s_and_saveexec_b64 s[4:5], s[6:7]
	s_cbranch_execz .LBB19_77
; %bb.76:
	v_mov_b32_e32 v4, 0
	ds_read_b64 v[1:2], v3
	ds_read_b64 v[4:5], v4 offset:8
	s_waitcnt lgkmcnt(0)
	v_cmp_gt_i64_e32 vcc, v[1:2], v[4:5]
	v_cndmask_b32_e32 v2, v5, v2, vcc
	v_cndmask_b32_e32 v1, v4, v1, vcc
	ds_write_b64 v3, v[1:2]
.LBB19_77:
	s_or_b64 exec, exec, s[4:5]
                                        ; implicit-def: $vgpr4
.LBB19_78:
	s_andn2_saveexec_b64 s[2:3], s[2:3]
	s_cbranch_execz .LBB19_82
; %bb.79:
	v_cmp_eq_u32_e32 vcc, 0, v0
	s_and_b64 s[4:5], vcc, s[0:1]
	s_and_saveexec_b64 s[0:1], s[4:5]
	s_cbranch_execz .LBB19_81
; %bb.80:
	v_mov_b32_e32 v3, 0
	ds_read_b64 v[1:2], v4
	ds_read_b64 v[5:6], v3 offset:2056
	s_waitcnt lgkmcnt(0)
	v_cmp_lt_i64_e32 vcc, v[1:2], v[5:6]
	v_cndmask_b32_e32 v2, v6, v2, vcc
	v_cndmask_b32_e32 v1, v5, v1, vcc
	ds_write_b64 v4, v[1:2]
.LBB19_81:
	s_or_b64 exec, exec, s[0:1]
.LBB19_82:
	s_or_b64 exec, exec, s[2:3]
	v_cmp_eq_u32_e32 vcc, 0, v0
	s_waitcnt lgkmcnt(0)
	s_barrier
	s_and_saveexec_b64 s[0:1], vcc
	s_cbranch_execz .LBB19_84
; %bb.83:
	v_mov_b32_e32 v4, 0
	ds_read2st64_b64 v[0:3], v4 offset1:4
	s_waitcnt lgkmcnt(0)
	v_sub_co_u32_e32 v0, vcc, v0, v2
	v_subb_co_u32_e32 v1, vcc, v1, v3, vcc
	v_ffbh_u32_e32 v0, v0
	v_ffbh_u32_e32 v1, v1
	v_add_u32_e64 v0, v0, 32 clamp
	v_min_u32_e32 v0, v0, v1
	v_sub_u32_e64 v0, 64, v0 clamp
	global_store_dwordx2 v4, v[2:3], s[14:15]
	global_store_byte v4, v0, s[12:13]
.LBB19_84:
	s_endpgm
	.section	.rodata,"a",@progbits
	.p2align	6, 0x0
	.amdhsa_kernel _Z27bitPackConfigFinalizeKernelIxxEvPKT_S2_PhPT0_PKm
		.amdhsa_group_segment_fixed_size 4096
		.amdhsa_private_segment_fixed_size 0
		.amdhsa_kernarg_size 40
		.amdhsa_user_sgpr_count 6
		.amdhsa_user_sgpr_private_segment_buffer 1
		.amdhsa_user_sgpr_dispatch_ptr 0
		.amdhsa_user_sgpr_queue_ptr 0
		.amdhsa_user_sgpr_kernarg_segment_ptr 1
		.amdhsa_user_sgpr_dispatch_id 0
		.amdhsa_user_sgpr_flat_scratch_init 0
		.amdhsa_user_sgpr_private_segment_size 0
		.amdhsa_uses_dynamic_stack 0
		.amdhsa_system_sgpr_private_segment_wavefront_offset 0
		.amdhsa_system_sgpr_workgroup_id_x 1
		.amdhsa_system_sgpr_workgroup_id_y 0
		.amdhsa_system_sgpr_workgroup_id_z 0
		.amdhsa_system_sgpr_workgroup_info 0
		.amdhsa_system_vgpr_workitem_id 0
		.amdhsa_next_free_vgpr 29
		.amdhsa_next_free_sgpr 61
		.amdhsa_reserve_vcc 1
		.amdhsa_reserve_flat_scratch 0
		.amdhsa_float_round_mode_32 0
		.amdhsa_float_round_mode_16_64 0
		.amdhsa_float_denorm_mode_32 3
		.amdhsa_float_denorm_mode_16_64 3
		.amdhsa_dx10_clamp 1
		.amdhsa_ieee_mode 1
		.amdhsa_fp16_overflow 0
		.amdhsa_exception_fp_ieee_invalid_op 0
		.amdhsa_exception_fp_denorm_src 0
		.amdhsa_exception_fp_ieee_div_zero 0
		.amdhsa_exception_fp_ieee_overflow 0
		.amdhsa_exception_fp_ieee_underflow 0
		.amdhsa_exception_fp_ieee_inexact 0
		.amdhsa_exception_int_div_zero 0
	.end_amdhsa_kernel
	.section	.text._Z27bitPackConfigFinalizeKernelIxxEvPKT_S2_PhPT0_PKm,"axG",@progbits,_Z27bitPackConfigFinalizeKernelIxxEvPKT_S2_PhPT0_PKm,comdat
.Lfunc_end19:
	.size	_Z27bitPackConfigFinalizeKernelIxxEvPKT_S2_PhPT0_PKm, .Lfunc_end19-_Z27bitPackConfigFinalizeKernelIxxEvPKT_S2_PhPT0_PKm
                                        ; -- End function
	.set _Z27bitPackConfigFinalizeKernelIxxEvPKT_S2_PhPT0_PKm.num_vgpr, 19
	.set _Z27bitPackConfigFinalizeKernelIxxEvPKT_S2_PhPT0_PKm.num_agpr, 0
	.set _Z27bitPackConfigFinalizeKernelIxxEvPKT_S2_PhPT0_PKm.numbered_sgpr, 16
	.set _Z27bitPackConfigFinalizeKernelIxxEvPKT_S2_PhPT0_PKm.num_named_barrier, 0
	.set _Z27bitPackConfigFinalizeKernelIxxEvPKT_S2_PhPT0_PKm.private_seg_size, 0
	.set _Z27bitPackConfigFinalizeKernelIxxEvPKT_S2_PhPT0_PKm.uses_vcc, 1
	.set _Z27bitPackConfigFinalizeKernelIxxEvPKT_S2_PhPT0_PKm.uses_flat_scratch, 0
	.set _Z27bitPackConfigFinalizeKernelIxxEvPKT_S2_PhPT0_PKm.has_dyn_sized_stack, 0
	.set _Z27bitPackConfigFinalizeKernelIxxEvPKT_S2_PhPT0_PKm.has_recursion, 0
	.set _Z27bitPackConfigFinalizeKernelIxxEvPKT_S2_PhPT0_PKm.has_indirect_call, 0
	.section	.AMDGPU.csdata,"",@progbits
; Kernel info:
; codeLenInByte = 2172
; TotalNumSgprs: 20
; NumVgprs: 19
; ScratchSize: 0
; MemoryBound: 0
; FloatMode: 240
; IeeeMode: 1
; LDSByteSize: 4096 bytes/workgroup (compile time only)
; SGPRBlocks: 8
; VGPRBlocks: 7
; NumSGPRsForWavesPerEU: 65
; NumVGPRsForWavesPerEU: 29
; Occupancy: 8
; WaveLimiterHint : 0
; COMPUTE_PGM_RSRC2:SCRATCH_EN: 0
; COMPUTE_PGM_RSRC2:USER_SGPR: 6
; COMPUTE_PGM_RSRC2:TRAP_HANDLER: 0
; COMPUTE_PGM_RSRC2:TGID_X_EN: 1
; COMPUTE_PGM_RSRC2:TGID_Y_EN: 0
; COMPUTE_PGM_RSRC2:TGID_Z_EN: 0
; COMPUTE_PGM_RSRC2:TIDIG_COMP_CNT: 0
	.section	.text._Z13bitPackKernelIxmEvPKhPKT_PT0_S4_PKm,"axG",@progbits,_Z13bitPackKernelIxmEvPKhPKT_PT0_S4_PKm,comdat
	.protected	_Z13bitPackKernelIxmEvPKhPKT_PT0_S4_PKm ; -- Begin function _Z13bitPackKernelIxmEvPKhPKT_PT0_S4_PKm
	.globl	_Z13bitPackKernelIxmEvPKhPKT_PT0_S4_PKm
	.p2align	8
	.type	_Z13bitPackKernelIxmEvPKhPKT_PT0_S4_PKm,@function
_Z13bitPackKernelIxmEvPKhPKT_PT0_S4_PKm: ; @_Z13bitPackKernelIxmEvPKhPKT_PT0_S4_PKm
; %bb.0:
	s_load_dwordx2 s[0:1], s[4:5], 0x20
	s_mov_b32 s16, 0
	s_mov_b32 s9, s16
	s_waitcnt lgkmcnt(0)
	s_load_dwordx2 s[2:3], s[0:1], 0x0
	s_waitcnt lgkmcnt(0)
	s_lshr_b64 s[0:1], s[2:3], 8
	s_and_b32 s8, s2, 0xff
	s_cmp_lg_u64 s[8:9], 0
	s_cselect_b64 s[8:9], -1, 0
	s_cmp_lg_u64 s[8:9], 0
	s_addc_u32 s7, s0, 0
	s_cmp_ge_i32 s6, s7
	s_cbranch_scc1 .LBB20_36
; %bb.1:
	s_load_dwordx8 s[8:15], s[4:5], 0x0
	v_mov_b32_e32 v1, 0
	v_mov_b32_e32 v4, 0x4f800000
	v_lshlrev_b32_e32 v16, 3, v0
	v_mov_b32_e32 v17, 0x100
	s_waitcnt lgkmcnt(0)
	global_load_ubyte v2, v1, s[8:9]
	s_load_dword s23, s[4:5], 0x28
	s_load_dwordx2 s[8:9], s[10:11], 0x0
	s_bfe_i64 s[4:5], s[2:3], 0x200000
	s_waitcnt vmcnt(0)
	v_readfirstlane_b32 s22, v2
	v_cvt_f32_u32_e32 v2, s22
	v_cvt_f32_u32_e32 v3, s22
	v_mac_f32_e32 v2, 0, v4
	v_rcp_f32_e32 v2, v2
	v_rcp_iflag_f32_e32 v3, v3
	v_mul_f32_e32 v2, 0x5f7ffffc, v2
	v_mul_f32_e32 v4, 0x2f800000, v2
	v_trunc_f32_e32 v4, v4
	v_mul_f32_e32 v3, 0x4f7ffffe, v3
	v_mac_f32_e32 v2, 0xcf800000, v4
	v_cvt_u32_f32_e32 v13, v4
	v_cvt_u32_f32_e32 v14, v2
	;; [unrolled: 1-line block ×3, first 2 shown]
	s_branch .LBB20_3
.LBB20_2:                               ;   in Loop: Header=BB20_3 Depth=1
	s_or_b64 exec, exec, s[0:1]
	s_waitcnt lgkmcnt(0)
	s_add_i32 s6, s23, s6
	s_cmp_ge_i32 s6, s7
	s_cbranch_scc1 .LBB20_36
.LBB20_3:                               ; =>This Loop Header: Depth=1
                                        ;     Child Loop BB20_19 Depth 2
                                        ;       Child Loop BB20_24 Depth 3
	s_lshl_b32 s10, s6, 8
	v_add_u32_e32 v3, s10, v0
	v_ashrrev_i32_e32 v4, 31, v3
	v_lshlrev_b64 v[5:6], 6, v[3:4]
                                        ; implicit-def: $vgpr7_vgpr8
	v_mov_b32_e32 v2, v6
	v_cmp_ne_u64_e32 vcc, 0, v[1:2]
	s_and_saveexec_b64 s[0:1], vcc
	s_xor_b64 s[18:19], exec, s[0:1]
	s_cbranch_execz .LBB20_5
; %bb.4:                                ;   in Loop: Header=BB20_3 Depth=1
	s_sub_u32 s11, 0, s22
	v_readfirstlane_b32 s0, v14
	v_readfirstlane_b32 s21, v13
	s_subb_u32 s17, 0, 0
	s_mul_hi_u32 s20, s11, s0
	s_mul_i32 s24, s11, s21
	s_mul_i32 s1, s17, s0
	s_add_i32 s20, s20, s24
	s_add_i32 s20, s20, s1
	s_mul_i32 s25, s11, s0
	s_mul_i32 s24, s0, s20
	s_mul_hi_u32 s26, s0, s25
	s_mul_hi_u32 s1, s0, s20
	s_add_u32 s24, s26, s24
	s_addc_u32 s1, 0, s1
	s_mul_hi_u32 s27, s21, s25
	s_mul_i32 s25, s21, s25
	s_add_u32 s24, s24, s25
	s_mul_hi_u32 s26, s21, s20
	s_addc_u32 s1, s1, s27
	s_addc_u32 s24, s26, 0
	s_mul_i32 s20, s21, s20
	s_add_u32 s1, s1, s20
	s_addc_u32 s20, 0, s24
	s_add_u32 s24, s0, s1
	s_cselect_b64 s[0:1], -1, 0
	s_cmp_lg_u64 s[0:1], 0
	s_addc_u32 s20, s21, s20
	s_mul_i32 s0, s11, s20
	s_mul_hi_u32 s1, s11, s24
	s_add_i32 s0, s1, s0
	s_mul_i32 s17, s17, s24
	s_add_i32 s0, s0, s17
	s_mul_i32 s11, s11, s24
	s_mul_hi_u32 s17, s20, s11
	s_mul_i32 s21, s20, s11
	s_mul_i32 s26, s24, s0
	s_mul_hi_u32 s11, s24, s11
	s_mul_hi_u32 s25, s24, s0
	s_add_u32 s11, s11, s26
	s_addc_u32 s25, 0, s25
	s_add_u32 s11, s11, s21
	s_mul_hi_u32 s1, s20, s0
	s_addc_u32 s11, s25, s17
	s_addc_u32 s1, s1, 0
	s_mul_i32 s0, s20, s0
	s_add_u32 s0, s11, s0
	s_addc_u32 s11, 0, s1
	s_add_u32 s17, s24, s0
	s_cselect_b64 s[0:1], -1, 0
	s_cmp_lg_u64 s[0:1], 0
	s_addc_u32 s11, s20, s11
	v_mad_u64_u32 v[7:8], s[0:1], v5, s11, 0
	v_mul_hi_u32 v2, v5, s17
	v_mad_u64_u32 v[9:10], s[0:1], v6, s11, 0
	v_add_co_u32_e32 v2, vcc, v2, v7
	v_addc_co_u32_e32 v11, vcc, 0, v8, vcc
	v_mad_u64_u32 v[7:8], s[0:1], v6, s17, 0
	v_add_co_u32_e32 v2, vcc, v2, v7
	v_addc_co_u32_e32 v2, vcc, v11, v8, vcc
	v_addc_co_u32_e32 v7, vcc, 0, v10, vcc
	v_add_co_u32_e32 v10, vcc, v2, v9
	v_addc_co_u32_e32 v11, vcc, 0, v7, vcc
	v_mad_u64_u32 v[7:8], s[0:1], s22, v10, 0
	v_mov_b32_e32 v2, v8
	v_mad_u64_u32 v[8:9], s[0:1], s22, v11, v[2:3]
	v_sub_co_u32_e32 v2, vcc, v5, v7
	v_subb_co_u32_e32 v7, vcc, v6, v8, vcc
	v_subrev_co_u32_e32 v8, vcc, s22, v2
	v_subbrev_co_u32_e32 v9, vcc, 0, v7, vcc
	v_cmp_le_u32_e32 vcc, s22, v8
	v_cndmask_b32_e64 v8, 0, -1, vcc
	v_cmp_eq_u32_e32 vcc, 0, v9
	v_cndmask_b32_e32 v8, -1, v8, vcc
	v_add_co_u32_e32 v9, vcc, 2, v10
	v_addc_co_u32_e32 v12, vcc, 0, v11, vcc
	v_add_co_u32_e32 v18, vcc, 1, v10
	v_cmp_le_u32_e64 s[0:1], s22, v2
	v_addc_co_u32_e32 v19, vcc, 0, v11, vcc
	v_cndmask_b32_e64 v2, 0, -1, s[0:1]
	v_cmp_eq_u32_e64 s[0:1], 0, v7
	v_cmp_ne_u32_e32 vcc, 0, v8
	v_cndmask_b32_e64 v2, -1, v2, s[0:1]
	v_cndmask_b32_e32 v8, v19, v12, vcc
	v_cmp_ne_u32_e64 s[0:1], 0, v2
	v_cndmask_b32_e32 v2, v18, v9, vcc
	v_cndmask_b32_e64 v8, v11, v8, s[0:1]
	v_cndmask_b32_e64 v7, v10, v2, s[0:1]
.LBB20_5:                               ;   in Loop: Header=BB20_3 Depth=1
	s_andn2_saveexec_b64 s[0:1], s[18:19]
	s_cbranch_execz .LBB20_7
; %bb.6:                                ;   in Loop: Header=BB20_3 Depth=1
	s_sub_i32 s11, 0, s22
	v_mul_lo_u32 v2, s11, v15
	v_mul_hi_u32 v2, v15, v2
	v_add_u32_e32 v2, v15, v2
	v_mul_hi_u32 v2, v5, v2
	v_mul_lo_u32 v7, v2, s22
	v_add_u32_e32 v8, 1, v2
	v_sub_u32_e32 v7, v5, v7
	v_subrev_u32_e32 v9, s22, v7
	v_cmp_le_u32_e32 vcc, s22, v7
	v_cndmask_b32_e32 v7, v7, v9, vcc
	v_cndmask_b32_e32 v2, v2, v8, vcc
	v_add_u32_e32 v8, 1, v2
	v_cmp_le_u32_e32 vcc, s22, v7
	v_cndmask_b32_e32 v7, v2, v8, vcc
	v_mov_b32_e32 v8, v1
.LBB20_7:                               ;   in Loop: Header=BB20_3 Depth=1
	s_or_b64 exec, exec, s[0:1]
	v_add_co_u32_e32 v18, vcc, 64, v5
	v_addc_co_u32_e32 v2, vcc, 0, v6, vcc
	v_cmp_ne_u64_e32 vcc, 0, v[1:2]
                                        ; implicit-def: $vgpr9_vgpr10
	s_and_saveexec_b64 s[0:1], vcc
	s_xor_b64 s[18:19], exec, s[0:1]
	s_cbranch_execz .LBB20_9
; %bb.8:                                ;   in Loop: Header=BB20_3 Depth=1
	s_sub_u32 s11, 0, s22
	v_readfirstlane_b32 s0, v14
	v_readfirstlane_b32 s21, v13
	s_subb_u32 s17, 0, 0
	s_mul_hi_u32 s20, s11, s0
	s_mul_i32 s24, s11, s21
	s_mul_i32 s1, s17, s0
	s_add_i32 s20, s20, s24
	s_add_i32 s20, s20, s1
	s_mul_i32 s25, s11, s0
	s_mul_i32 s24, s0, s20
	s_mul_hi_u32 s26, s0, s25
	s_mul_hi_u32 s1, s0, s20
	s_add_u32 s24, s26, s24
	s_addc_u32 s1, 0, s1
	s_mul_hi_u32 s27, s21, s25
	s_mul_i32 s25, s21, s25
	s_add_u32 s24, s24, s25
	s_mul_hi_u32 s26, s21, s20
	s_addc_u32 s1, s1, s27
	s_addc_u32 s24, s26, 0
	s_mul_i32 s20, s21, s20
	s_add_u32 s1, s1, s20
	s_addc_u32 s20, 0, s24
	s_add_u32 s24, s0, s1
	s_cselect_b64 s[0:1], -1, 0
	s_cmp_lg_u64 s[0:1], 0
	s_addc_u32 s20, s21, s20
	s_mul_i32 s0, s11, s20
	s_mul_hi_u32 s1, s11, s24
	s_add_i32 s0, s1, s0
	s_mul_i32 s17, s17, s24
	s_add_i32 s0, s0, s17
	s_mul_i32 s11, s11, s24
	s_mul_hi_u32 s17, s20, s11
	s_mul_i32 s21, s20, s11
	s_mul_i32 s26, s24, s0
	s_mul_hi_u32 s11, s24, s11
	s_mul_hi_u32 s25, s24, s0
	s_add_u32 s11, s11, s26
	s_addc_u32 s25, 0, s25
	s_add_u32 s11, s11, s21
	s_mul_hi_u32 s1, s20, s0
	s_addc_u32 s11, s25, s17
	s_addc_u32 s1, s1, 0
	s_mul_i32 s0, s20, s0
	s_add_u32 s0, s11, s0
	s_addc_u32 s11, 0, s1
	s_add_u32 s17, s24, s0
	s_cselect_b64 s[0:1], -1, 0
	s_cmp_lg_u64 s[0:1], 0
	s_addc_u32 s11, s20, s11
	v_mad_u64_u32 v[9:10], s[0:1], v18, s11, 0
	v_mul_hi_u32 v6, v18, s17
	v_mad_u64_u32 v[11:12], s[0:1], v2, s11, 0
	v_add_co_u32_e32 v6, vcc, v6, v9
	v_addc_co_u32_e32 v19, vcc, 0, v10, vcc
	v_mad_u64_u32 v[9:10], s[0:1], v2, s17, 0
	v_add_co_u32_e32 v6, vcc, v6, v9
	v_addc_co_u32_e32 v6, vcc, v19, v10, vcc
	v_addc_co_u32_e32 v9, vcc, 0, v12, vcc
	v_add_co_u32_e32 v12, vcc, v6, v11
	v_addc_co_u32_e32 v19, vcc, 0, v9, vcc
	v_mad_u64_u32 v[9:10], s[0:1], s22, v12, 0
	v_mov_b32_e32 v6, v10
	v_mad_u64_u32 v[10:11], s[0:1], s22, v19, v[6:7]
	v_sub_co_u32_e32 v6, vcc, v18, v9
	v_subb_co_u32_e32 v9, vcc, v2, v10, vcc
	v_subrev_co_u32_e32 v10, vcc, s22, v6
	v_subbrev_co_u32_e32 v11, vcc, 0, v9, vcc
	v_cmp_le_u32_e32 vcc, s22, v10
	v_cndmask_b32_e64 v10, 0, -1, vcc
	v_cmp_eq_u32_e32 vcc, 0, v11
	v_cndmask_b32_e32 v10, -1, v10, vcc
	v_add_co_u32_e32 v11, vcc, 2, v12
	v_addc_co_u32_e32 v20, vcc, 0, v19, vcc
	v_add_co_u32_e32 v21, vcc, 1, v12
	v_cmp_le_u32_e64 s[0:1], s22, v6
	v_addc_co_u32_e32 v22, vcc, 0, v19, vcc
	v_cndmask_b32_e64 v6, 0, -1, s[0:1]
	v_cmp_eq_u32_e64 s[0:1], 0, v9
	v_cmp_ne_u32_e32 vcc, 0, v10
	v_cndmask_b32_e64 v6, -1, v6, s[0:1]
	v_cndmask_b32_e32 v10, v22, v20, vcc
	v_cmp_ne_u32_e64 s[0:1], 0, v6
	v_cndmask_b32_e32 v6, v21, v11, vcc
	v_cndmask_b32_e64 v10, v19, v10, s[0:1]
	v_cndmask_b32_e64 v9, v12, v6, s[0:1]
.LBB20_9:                               ;   in Loop: Header=BB20_3 Depth=1
	s_andn2_saveexec_b64 s[0:1], s[18:19]
	s_cbranch_execz .LBB20_11
; %bb.10:                               ;   in Loop: Header=BB20_3 Depth=1
	s_sub_i32 s11, 0, s22
	v_mul_lo_u32 v6, s11, v15
	v_mul_hi_u32 v6, v15, v6
	v_add_u32_e32 v6, v15, v6
	v_mul_hi_u32 v6, v18, v6
	v_mul_lo_u32 v9, v6, s22
	v_add_u32_e32 v10, 1, v6
	v_sub_u32_e32 v9, v18, v9
	v_subrev_u32_e32 v11, s22, v9
	v_cmp_le_u32_e32 vcc, s22, v9
	v_cndmask_b32_e32 v9, v9, v11, vcc
	v_cndmask_b32_e32 v6, v6, v10, vcc
	v_add_u32_e32 v10, 1, v6
	v_cmp_le_u32_e32 vcc, s22, v9
	v_cndmask_b32_e32 v9, v6, v10, vcc
	v_mov_b32_e32 v10, v1
.LBB20_11:                              ;   in Loop: Header=BB20_3 Depth=1
	s_or_b64 exec, exec, s[0:1]
	s_ashr_i32 s11, s10, 31
	s_lshl_b64 s[18:19], s[10:11], 6
	s_mov_b32 s17, s19
	s_cmp_lg_u64 s[16:17], 0
	s_cbranch_scc0 .LBB20_34
; %bb.12:                               ;   in Loop: Header=BB20_3 Depth=1
	s_sub_u32 s11, 0, s22
	v_readfirstlane_b32 s0, v14
	v_readfirstlane_b32 s21, v13
	s_subb_u32 s17, 0, 0
	s_mul_hi_u32 s20, s11, s0
	s_mul_i32 s24, s11, s21
	s_mul_i32 s1, s17, s0
	s_add_i32 s20, s20, s24
	s_add_i32 s20, s20, s1
	s_mul_i32 s25, s11, s0
	s_mul_i32 s24, s0, s20
	s_mul_hi_u32 s26, s0, s25
	s_mul_hi_u32 s1, s0, s20
	s_add_u32 s24, s26, s24
	s_addc_u32 s1, 0, s1
	s_mul_hi_u32 s27, s21, s25
	s_mul_i32 s25, s21, s25
	s_add_u32 s24, s24, s25
	s_mul_hi_u32 s26, s21, s20
	s_addc_u32 s1, s1, s27
	s_addc_u32 s24, s26, 0
	s_mul_i32 s20, s21, s20
	s_add_u32 s1, s1, s20
	s_addc_u32 s20, 0, s24
	s_add_u32 s24, s0, s1
	s_cselect_b64 s[0:1], -1, 0
	s_cmp_lg_u64 s[0:1], 0
	s_addc_u32 s20, s21, s20
	s_mul_i32 s0, s11, s20
	s_mul_hi_u32 s1, s11, s24
	s_add_i32 s0, s1, s0
	s_mul_i32 s17, s17, s24
	s_add_i32 s0, s0, s17
	s_mul_i32 s11, s11, s24
	s_mul_hi_u32 s17, s20, s11
	s_mul_i32 s21, s20, s11
	s_mul_i32 s26, s24, s0
	s_mul_hi_u32 s11, s24, s11
	s_mul_hi_u32 s25, s24, s0
	s_add_u32 s11, s11, s26
	s_addc_u32 s25, 0, s25
	s_add_u32 s11, s11, s21
	s_mul_hi_u32 s1, s20, s0
	s_addc_u32 s11, s25, s17
	s_addc_u32 s1, s1, 0
	s_mul_i32 s0, s20, s0
	s_add_u32 s0, s11, s0
	s_addc_u32 s11, 0, s1
	s_add_u32 s17, s24, s0
	s_cselect_b64 s[0:1], -1, 0
	s_cmp_lg_u64 s[0:1], 0
	s_addc_u32 s0, s20, s11
	s_mul_i32 s11, s18, s0
	s_mul_hi_u32 s20, s18, s17
	s_mul_hi_u32 s1, s18, s0
	s_add_u32 s11, s20, s11
	s_addc_u32 s1, 0, s1
	s_mul_hi_u32 s21, s19, s17
	s_mul_i32 s17, s19, s17
	s_add_u32 s11, s11, s17
	s_mul_hi_u32 s20, s19, s0
	s_addc_u32 s1, s1, s21
	s_addc_u32 s11, s20, 0
	s_mul_i32 s0, s19, s0
	s_add_u32 s17, s1, s0
	s_addc_u32 s11, 0, s11
	s_add_u32 s20, s17, 1
	s_addc_u32 s21, s11, 0
	s_add_u32 s24, s17, 2
	s_mul_i32 s0, s22, s11
	s_mul_hi_u32 s1, s22, s17
	s_addc_u32 s25, s11, 0
	s_add_i32 s26, s1, s0
	s_mul_i32 s0, s22, s17
	s_sub_u32 s27, s18, s0
	s_cselect_b64 s[0:1], -1, 0
	s_cmp_lg_u64 s[0:1], 0
	s_subb_u32 s19, s19, s26
	s_sub_u32 s26, s27, s22
	s_cselect_b64 s[0:1], -1, 0
	s_cmp_lg_u64 s[0:1], 0
	s_subb_u32 s0, s19, 0
	s_cmp_ge_u32 s26, s22
	s_cselect_b32 s1, -1, 0
	s_cmp_eq_u32 s0, 0
	s_cselect_b32 s0, s1, -1
	s_cmp_lg_u32 s0, 0
	s_cselect_b32 s0, s24, s20
	s_cselect_b32 s1, s25, s21
	s_cmp_ge_u32 s27, s22
	s_cselect_b32 s20, -1, 0
	s_cmp_eq_u32 s19, 0
	s_cselect_b32 s19, s20, -1
	s_cmp_lg_u32 s19, 0
	s_cselect_b32 s1, s1, s11
	s_cselect_b32 s0, s0, s17
	s_cbranch_execnz .LBB20_14
.LBB20_13:                              ;   in Loop: Header=BB20_3 Depth=1
	s_sub_i32 s0, 0, s22
	v_readfirstlane_b32 s1, v15
	s_mul_i32 s0, s0, s1
	s_mul_hi_u32 s0, s1, s0
	s_add_i32 s1, s1, s0
	s_mul_hi_u32 s0, s18, s1
	s_mul_i32 s11, s0, s22
	s_sub_i32 s11, s18, s11
	s_add_i32 s1, s0, 1
	s_sub_i32 s17, s11, s22
	s_cmp_ge_u32 s11, s22
	s_cselect_b32 s0, s1, s0
	s_cselect_b32 s11, s17, s11
	s_add_i32 s1, s0, 1
	s_cmp_ge_u32 s11, s22
	s_cselect_b32 s0, s1, s0
	s_mov_b32 s1, s16
.LBB20_14:                              ;   in Loop: Header=BB20_3 Depth=1
	s_addk_i32 s10, 0x100
	s_ashr_i32 s11, s10, 31
	s_lshl_b64 s[10:11], s[10:11], 6
	s_mov_b32 s17, s11
	s_cmp_lg_u64 s[16:17], 0
	s_cbranch_scc0 .LBB20_35
; %bb.15:                               ;   in Loop: Header=BB20_3 Depth=1
	s_sub_u32 s17, 0, s22
	v_readfirstlane_b32 s18, v14
	v_readfirstlane_b32 s24, v13
	s_subb_u32 s20, 0, 0
	s_mul_hi_u32 s21, s17, s18
	s_mul_i32 s25, s17, s24
	s_mul_i32 s19, s20, s18
	s_add_i32 s21, s21, s25
	s_add_i32 s21, s21, s19
	s_mul_i32 s26, s17, s18
	s_mul_i32 s25, s18, s21
	s_mul_hi_u32 s27, s18, s26
	s_mul_hi_u32 s19, s18, s21
	s_add_u32 s25, s27, s25
	s_addc_u32 s19, 0, s19
	s_mul_hi_u32 s28, s24, s26
	s_mul_i32 s26, s24, s26
	s_add_u32 s25, s25, s26
	s_mul_hi_u32 s27, s24, s21
	s_addc_u32 s19, s19, s28
	s_addc_u32 s25, s27, 0
	s_mul_i32 s21, s24, s21
	s_add_u32 s19, s19, s21
	s_addc_u32 s21, 0, s25
	s_add_u32 s25, s18, s19
	s_cselect_b64 s[18:19], -1, 0
	s_cmp_lg_u64 s[18:19], 0
	s_addc_u32 s21, s24, s21
	s_mul_i32 s18, s17, s21
	s_mul_hi_u32 s19, s17, s25
	s_add_i32 s18, s19, s18
	s_mul_i32 s20, s20, s25
	s_add_i32 s18, s18, s20
	s_mul_i32 s17, s17, s25
	s_mul_hi_u32 s20, s21, s17
	s_mul_i32 s24, s21, s17
	s_mul_i32 s27, s25, s18
	s_mul_hi_u32 s17, s25, s17
	s_mul_hi_u32 s26, s25, s18
	s_add_u32 s17, s17, s27
	s_addc_u32 s26, 0, s26
	s_add_u32 s17, s17, s24
	s_mul_hi_u32 s19, s21, s18
	s_addc_u32 s17, s26, s20
	s_addc_u32 s19, s19, 0
	s_mul_i32 s18, s21, s18
	s_add_u32 s17, s17, s18
	s_addc_u32 s20, 0, s19
	s_add_u32 s17, s25, s17
	s_cselect_b64 s[18:19], -1, 0
	s_cmp_lg_u64 s[18:19], 0
	s_addc_u32 s18, s21, s20
	s_mul_i32 s20, s10, s18
	s_mul_hi_u32 s21, s10, s17
	s_mul_hi_u32 s19, s10, s18
	s_add_u32 s20, s21, s20
	s_addc_u32 s19, 0, s19
	s_mul_hi_u32 s24, s11, s17
	s_mul_i32 s17, s11, s17
	s_add_u32 s17, s20, s17
	s_mul_hi_u32 s21, s11, s18
	s_addc_u32 s17, s19, s24
	s_addc_u32 s19, s21, 0
	s_mul_i32 s18, s11, s18
	s_add_u32 s17, s17, s18
	s_addc_u32 s20, 0, s19
	s_add_u32 s21, s17, 1
	s_addc_u32 s24, s20, 0
	s_add_u32 s25, s17, 2
	s_mul_i32 s18, s22, s20
	s_mul_hi_u32 s19, s22, s17
	s_addc_u32 s26, s20, 0
	s_add_i32 s27, s19, s18
	s_mul_i32 s18, s22, s17
	s_sub_u32 s28, s10, s18
	s_cselect_b64 s[18:19], -1, 0
	s_cmp_lg_u64 s[18:19], 0
	s_subb_u32 s27, s11, s27
	s_sub_u32 s29, s28, s22
	s_cselect_b64 s[18:19], -1, 0
	s_cmp_lg_u64 s[18:19], 0
	s_subb_u32 s18, s27, 0
	s_cmp_ge_u32 s29, s22
	s_cselect_b32 s19, -1, 0
	s_cmp_eq_u32 s18, 0
	s_cselect_b32 s18, s19, -1
	s_cmp_lg_u32 s18, 0
	s_cselect_b32 s18, s25, s21
	s_cselect_b32 s19, s26, s24
	s_cmp_ge_u32 s28, s22
	s_cselect_b32 s21, -1, 0
	s_cmp_eq_u32 s27, 0
	s_cselect_b32 s21, s21, -1
	s_cmp_lg_u32 s21, 0
	s_cselect_b32 s19, s19, s20
	s_cselect_b32 s18, s18, s17
	s_cbranch_execnz .LBB20_17
.LBB20_16:                              ;   in Loop: Header=BB20_3 Depth=1
	s_sub_i32 s17, 0, s22
	v_readfirstlane_b32 s18, v15
	s_mul_i32 s17, s17, s18
	s_mul_hi_u32 s17, s18, s17
	s_add_i32 s18, s18, s17
	s_mul_hi_u32 s17, s10, s18
	s_mul_i32 s19, s17, s22
	s_sub_i32 s19, s10, s19
	s_add_i32 s18, s17, 1
	s_sub_i32 s20, s19, s22
	s_cmp_ge_u32 s19, s22
	s_cselect_b32 s17, s18, s17
	s_cselect_b32 s19, s20, s19
	s_add_i32 s18, s17, 1
	s_cmp_ge_u32 s19, s22
	s_cselect_b32 s18, s18, s17
	s_mov_b32 s19, s16
.LBB20_17:                              ;   in Loop: Header=BB20_3 Depth=1
	s_and_b32 s17, s0, 0xffffff00
	v_mov_b32_e32 v11, s17
	v_mov_b32_e32 v12, s1
	v_cmp_lt_u64_e32 vcc, s[4:5], v[11:12]
	v_mov_b32_e32 v12, s19
	s_and_b64 s[0:1], vcc, exec
	s_mul_i32 s0, s19, s22
	s_mul_hi_u32 s1, s18, s22
	s_cselect_b32 s17, s4, s17
	s_add_i32 s1, s1, s0
	s_mul_i32 s0, s18, s22
	s_sub_u32 s0, s10, s0
	s_subb_u32 s1, s11, s1
	s_cmp_lg_u64 s[0:1], 0
	s_cselect_b64 s[0:1], -1, 0
	v_cndmask_b32_e64 v11, 0, 1, s[0:1]
	v_add_co_u32_e32 v19, vcc, s18, v11
	v_addc_co_u32_e32 v20, vcc, 0, v12, vcc
	v_and_b32_e32 v11, 0xff, v19
	v_mov_b32_e32 v12, v1
	v_cmp_eq_u64_e32 vcc, 0, v[11:12]
	v_mov_b32_e32 v6, s4
	v_cndmask_b32_e64 v11, v17, 0, vcc
	v_add_co_u32_e32 v11, vcc, v11, v19
	v_addc_co_u32_e32 v12, vcc, 0, v20, vcc
	v_and_b32_e32 v11, 0xffffff00, v11
	v_cmp_lt_u64_e32 vcc, s[4:5], v[11:12]
	v_cmp_lt_u64_e64 s[0:1], s[4:5], v[7:8]
	v_cndmask_b32_e32 v19, v11, v6, vcc
	v_mov_b32_e32 v11, 0
	v_cmp_ge_i32_e32 vcc, s17, v19
	v_mov_b32_e32 v12, 0
	v_cndmask_b32_e64 v6, v7, v6, s[0:1]
	s_cbranch_vccnz .LBB20_32
; %bb.18:                               ;   in Loop: Header=BB20_3 Depth=1
	v_mad_u64_u32 v[7:8], s[0:1], v9, s22, 0
	v_mov_b32_e32 v11, 0
	v_mov_b32_e32 v12, 0
	v_mad_u64_u32 v[20:21], s[0:1], v10, s22, v[8:9]
	v_sub_co_u32_e32 v7, vcc, v18, v7
	v_subb_co_u32_e32 v8, vcc, v2, v20, vcc
	v_cmp_ne_u64_e32 vcc, 0, v[7:8]
	v_cndmask_b32_e64 v2, 0, 1, vcc
	v_add_co_u32_e32 v7, vcc, v9, v2
	v_addc_co_u32_e32 v8, vcc, 0, v10, vcc
	v_cmp_lt_u64_e32 vcc, s[4:5], v[7:8]
	v_mov_b32_e32 v2, s4
	v_cndmask_b32_e32 v2, v7, v2, vcc
.LBB20_19:                              ;   Parent Loop BB20_3 Depth=1
                                        ; =>  This Loop Header: Depth=2
                                        ;       Child Loop BB20_24 Depth 3
	v_add_u32_e32 v7, s17, v0
	v_ashrrev_i32_e32 v8, 31, v7
	v_cmp_gt_u64_e32 vcc, s[2:3], v[7:8]
	s_waitcnt vmcnt(0) lgkmcnt(0)
	s_barrier
	s_and_saveexec_b64 s[0:1], vcc
	s_cbranch_execz .LBB20_21
; %bb.20:                               ;   in Loop: Header=BB20_19 Depth=2
	v_lshlrev_b64 v[7:8], 3, v[7:8]
	v_mov_b32_e32 v9, s15
	v_add_co_u32_e32 v7, vcc, s14, v7
	v_addc_co_u32_e32 v8, vcc, v9, v8, vcc
	global_load_dwordx2 v[7:8], v[7:8], off
	v_mov_b32_e32 v9, s9
	s_waitcnt vmcnt(0)
	v_subrev_co_u32_e32 v7, vcc, s8, v7
	v_subb_co_u32_e32 v8, vcc, v8, v9, vcc
	ds_write_b64 v16, v[7:8]
.LBB20_21:                              ;   in Loop: Header=BB20_19 Depth=2
	s_or_b64 exec, exec, s[0:1]
	s_add_i32 s20, s17, 0x100
	v_max_i32_e32 v18, s17, v6
	v_min_i32_e32 v20, s20, v2
	v_cmp_lt_i32_e32 vcc, v18, v20
	s_waitcnt lgkmcnt(0)
	s_barrier
	s_and_saveexec_b64 s[0:1], vcc
	s_cbranch_execz .LBB20_29
; %bb.22:                               ;   in Loop: Header=BB20_19 Depth=2
	s_mov_b64 s[10:11], 0
	s_branch .LBB20_24
.LBB20_23:                              ;   in Loop: Header=BB20_24 Depth=3
	s_or_b64 exec, exec, s[18:19]
	v_add_u32_e32 v18, 1, v18
	v_cmp_ge_i32_e32 vcc, v18, v20
	v_or_b32_e32 v12, v8, v12
	s_or_b64 s[10:11], vcc, s[10:11]
	v_or_b32_e32 v11, v7, v11
	s_andn2_b64 exec, exec, s[10:11]
	s_cbranch_execz .LBB20_28
.LBB20_24:                              ;   Parent Loop BB20_3 Depth=1
                                        ;     Parent Loop BB20_19 Depth=2
                                        ; =>    This Inner Loop Header: Depth=3
	v_subrev_u32_e32 v7, s17, v18
	v_lshlrev_b32_e32 v7, 3, v7
	v_mul_lo_u32 v8, v18, s22
	s_waitcnt lgkmcnt(0)
	ds_read_b64 v[9:10], v7
	v_sub_u32_e32 v21, v8, v5
	v_cmp_gt_i32_e32 vcc, 1, v21
                                        ; implicit-def: $vgpr7_vgpr8
	s_and_saveexec_b64 s[18:19], vcc
	s_xor_b64 s[18:19], exec, s[18:19]
	s_cbranch_execz .LBB20_26
; %bb.25:                               ;   in Loop: Header=BB20_24 Depth=3
	v_sub_u32_e32 v7, 0, v21
	s_waitcnt lgkmcnt(0)
	v_lshrrev_b64 v[7:8], v7, v[9:10]
                                        ; implicit-def: $vgpr21
                                        ; implicit-def: $vgpr9_vgpr10
.LBB20_26:                              ;   in Loop: Header=BB20_24 Depth=3
	s_andn2_saveexec_b64 s[18:19], s[18:19]
	s_cbranch_execz .LBB20_23
; %bb.27:                               ;   in Loop: Header=BB20_24 Depth=3
	s_waitcnt lgkmcnt(0)
	v_lshlrev_b64 v[7:8], v21, v[9:10]
	s_branch .LBB20_23
.LBB20_28:                              ;   in Loop: Header=BB20_19 Depth=2
	s_or_b64 exec, exec, s[10:11]
.LBB20_29:                              ;   in Loop: Header=BB20_19 Depth=2
	s_or_b64 exec, exec, s[0:1]
; %bb.30:                               ;   in Loop: Header=BB20_19 Depth=2
	v_cmp_lt_i32_e32 vcc, s20, v19
	s_cbranch_vccz .LBB20_32
; %bb.31:                               ;   in Loop: Header=BB20_19 Depth=2
	s_mov_b32 s17, s20
	s_branch .LBB20_19
.LBB20_32:                              ;   in Loop: Header=BB20_3 Depth=1
	v_ashrrev_i32_e32 v7, 31, v6
	v_cmp_gt_u64_e32 vcc, s[2:3], v[6:7]
	s_and_saveexec_b64 s[0:1], vcc
	s_cbranch_execz .LBB20_2
; %bb.33:                               ;   in Loop: Header=BB20_3 Depth=1
	v_lshlrev_b64 v[2:3], 3, v[3:4]
	v_mov_b32_e32 v4, s13
	v_add_co_u32_e32 v2, vcc, s12, v2
	v_addc_co_u32_e32 v3, vcc, v4, v3, vcc
	global_store_dwordx2 v[2:3], v[11:12], off
	s_branch .LBB20_2
.LBB20_34:                              ;   in Loop: Header=BB20_3 Depth=1
                                        ; implicit-def: $sgpr0_sgpr1
	s_branch .LBB20_13
.LBB20_35:                              ;   in Loop: Header=BB20_3 Depth=1
                                        ; implicit-def: $sgpr18_sgpr19
	s_branch .LBB20_16
.LBB20_36:
	s_endpgm
	.section	.rodata,"a",@progbits
	.p2align	6, 0x0
	.amdhsa_kernel _Z13bitPackKernelIxmEvPKhPKT_PT0_S4_PKm
		.amdhsa_group_segment_fixed_size 2048
		.amdhsa_private_segment_fixed_size 0
		.amdhsa_kernarg_size 296
		.amdhsa_user_sgpr_count 6
		.amdhsa_user_sgpr_private_segment_buffer 1
		.amdhsa_user_sgpr_dispatch_ptr 0
		.amdhsa_user_sgpr_queue_ptr 0
		.amdhsa_user_sgpr_kernarg_segment_ptr 1
		.amdhsa_user_sgpr_dispatch_id 0
		.amdhsa_user_sgpr_flat_scratch_init 0
		.amdhsa_user_sgpr_private_segment_size 0
		.amdhsa_uses_dynamic_stack 0
		.amdhsa_system_sgpr_private_segment_wavefront_offset 0
		.amdhsa_system_sgpr_workgroup_id_x 1
		.amdhsa_system_sgpr_workgroup_id_y 0
		.amdhsa_system_sgpr_workgroup_id_z 0
		.amdhsa_system_sgpr_workgroup_info 0
		.amdhsa_system_vgpr_workitem_id 0
		.amdhsa_next_free_vgpr 29
		.amdhsa_next_free_sgpr 61
		.amdhsa_reserve_vcc 1
		.amdhsa_reserve_flat_scratch 0
		.amdhsa_float_round_mode_32 0
		.amdhsa_float_round_mode_16_64 0
		.amdhsa_float_denorm_mode_32 3
		.amdhsa_float_denorm_mode_16_64 3
		.amdhsa_dx10_clamp 1
		.amdhsa_ieee_mode 1
		.amdhsa_fp16_overflow 0
		.amdhsa_exception_fp_ieee_invalid_op 0
		.amdhsa_exception_fp_denorm_src 0
		.amdhsa_exception_fp_ieee_div_zero 0
		.amdhsa_exception_fp_ieee_overflow 0
		.amdhsa_exception_fp_ieee_underflow 0
		.amdhsa_exception_fp_ieee_inexact 0
		.amdhsa_exception_int_div_zero 0
	.end_amdhsa_kernel
	.section	.text._Z13bitPackKernelIxmEvPKhPKT_PT0_S4_PKm,"axG",@progbits,_Z13bitPackKernelIxmEvPKhPKT_PT0_S4_PKm,comdat
.Lfunc_end20:
	.size	_Z13bitPackKernelIxmEvPKhPKT_PT0_S4_PKm, .Lfunc_end20-_Z13bitPackKernelIxmEvPKhPKT_PT0_S4_PKm
                                        ; -- End function
	.set _Z13bitPackKernelIxmEvPKhPKT_PT0_S4_PKm.num_vgpr, 23
	.set _Z13bitPackKernelIxmEvPKhPKT_PT0_S4_PKm.num_agpr, 0
	.set _Z13bitPackKernelIxmEvPKhPKT_PT0_S4_PKm.numbered_sgpr, 30
	.set _Z13bitPackKernelIxmEvPKhPKT_PT0_S4_PKm.num_named_barrier, 0
	.set _Z13bitPackKernelIxmEvPKhPKT_PT0_S4_PKm.private_seg_size, 0
	.set _Z13bitPackKernelIxmEvPKhPKT_PT0_S4_PKm.uses_vcc, 1
	.set _Z13bitPackKernelIxmEvPKhPKT_PT0_S4_PKm.uses_flat_scratch, 0
	.set _Z13bitPackKernelIxmEvPKhPKT_PT0_S4_PKm.has_dyn_sized_stack, 0
	.set _Z13bitPackKernelIxmEvPKhPKT_PT0_S4_PKm.has_recursion, 0
	.set _Z13bitPackKernelIxmEvPKhPKT_PT0_S4_PKm.has_indirect_call, 0
	.section	.AMDGPU.csdata,"",@progbits
; Kernel info:
; codeLenInByte = 2816
; TotalNumSgprs: 34
; NumVgprs: 23
; ScratchSize: 0
; MemoryBound: 0
; FloatMode: 240
; IeeeMode: 1
; LDSByteSize: 2048 bytes/workgroup (compile time only)
; SGPRBlocks: 8
; VGPRBlocks: 7
; NumSGPRsForWavesPerEU: 65
; NumVGPRsForWavesPerEU: 29
; Occupancy: 8
; WaveLimiterHint : 0
; COMPUTE_PGM_RSRC2:SCRATCH_EN: 0
; COMPUTE_PGM_RSRC2:USER_SGPR: 6
; COMPUTE_PGM_RSRC2:TRAP_HANDLER: 0
; COMPUTE_PGM_RSRC2:TGID_X_EN: 1
; COMPUTE_PGM_RSRC2:TGID_Y_EN: 0
; COMPUTE_PGM_RSRC2:TGID_Z_EN: 0
; COMPUTE_PGM_RSRC2:TIDIG_COMP_CNT: 0
	.section	.text._Z23bitPackConfigScanKernelIyyEvPT_S1_PKT0_PKm,"axG",@progbits,_Z23bitPackConfigScanKernelIyyEvPT_S1_PKT0_PKm,comdat
	.protected	_Z23bitPackConfigScanKernelIyyEvPT_S1_PKT0_PKm ; -- Begin function _Z23bitPackConfigScanKernelIyyEvPT_S1_PKT0_PKm
	.globl	_Z23bitPackConfigScanKernelIyyEvPT_S1_PKT0_PKm
	.p2align	8
	.type	_Z23bitPackConfigScanKernelIyyEvPT_S1_PKT0_PKm,@function
_Z23bitPackConfigScanKernelIyyEvPT_S1_PKT0_PKm: ; @_Z23bitPackConfigScanKernelIyyEvPT_S1_PKT0_PKm
; %bb.0:
	s_load_dwordx8 s[8:15], s[4:5], 0x0
	s_waitcnt lgkmcnt(0)
	s_load_dwordx2 s[0:1], s[14:15], 0x0
	s_mov_b32 s15, 0
	s_waitcnt lgkmcnt(0)
	s_lshr_b64 s[2:3], s[0:1], 8
	s_and_b32 s14, s0, 0xff
	s_cmp_lg_u64 s[14:15], 0
	s_cselect_b64 s[14:15], -1, 0
	s_cmp_lg_u64 s[14:15], 0
	s_addc_u32 s14, s2, 0
	s_cmp_ge_u32 s6, s14
	s_cbranch_scc1 .LBB21_82
; %bb.1:
	s_cmp_lt_i32 s6, s14
	s_cbranch_scc1 .LBB21_83
; %bb.2:
	s_cbranch_execz .LBB21_84
; %bb.3:
	v_mov_b32_e32 v1, 0
	v_mov_b32_e32 v3, 0
	;; [unrolled: 1-line block ×4, first 2 shown]
	s_mov_b32 s7, 0
.LBB21_4:
	v_lshlrev_b32_e32 v5, 3, v0
	s_movk_i32 s0, 0x7f
	ds_write2st64_b64 v5, v[3:4], v[1:2] offset1:4
	v_cmp_lt_u32_e32 vcc, s0, v0
	v_add_u32_e32 v1, 0xfffffc00, v5
	s_waitcnt lgkmcnt(0)
	s_barrier
	s_and_saveexec_b64 s[0:1], vcc
	s_xor_b64 s[2:3], exec, s[0:1]
	s_cbranch_execz .LBB21_8
; %bb.5:
	v_cmp_gt_i32_e64 s[0:1], s7, v0
	s_and_saveexec_b64 s[4:5], s[0:1]
	s_cbranch_execz .LBB21_7
; %bb.6:
	ds_read_b64 v[2:3], v1
	ds_read_b64 v[6:7], v5
	s_waitcnt lgkmcnt(0)
	v_cmp_gt_u64_e64 s[0:1], v[2:3], v[6:7]
	v_cndmask_b32_e64 v3, v7, v3, s[0:1]
	v_cndmask_b32_e64 v2, v6, v2, s[0:1]
	ds_write_b64 v1, v[2:3]
.LBB21_7:
	s_or_b64 exec, exec, s[4:5]
.LBB21_8:
	s_or_saveexec_b64 s[2:3], s[2:3]
	v_add_u32_e32 v2, 0x800, v5
	s_xor_b64 exec, exec, s[2:3]
	s_cbranch_execz .LBB21_12
; %bb.9:
	v_or_b32_e32 v3, 0x80, v0
	v_cmp_gt_i32_e64 s[0:1], s7, v3
	s_and_saveexec_b64 s[4:5], s[0:1]
	s_cbranch_execz .LBB21_11
; %bb.10:
	ds_read2st64_b64 v[6:9], v2 offset1:2
	s_waitcnt lgkmcnt(0)
	v_cmp_lt_u64_e64 s[0:1], v[6:7], v[8:9]
	v_cndmask_b32_e64 v4, v9, v7, s[0:1]
	v_cndmask_b32_e64 v3, v8, v6, s[0:1]
	ds_write_b64 v2, v[3:4]
.LBB21_11:
	s_or_b64 exec, exec, s[4:5]
.LBB21_12:
	s_or_b64 exec, exec, s[2:3]
	s_waitcnt lgkmcnt(0)
	s_barrier
	s_and_saveexec_b64 s[0:1], vcc
	s_xor_b64 s[2:3], exec, s[0:1]
	s_cbranch_execz .LBB21_17
; %bb.13:
	s_movk_i32 s0, 0xc0
	v_cmp_gt_u32_e64 s[0:1], s0, v0
	s_and_saveexec_b64 s[4:5], s[0:1]
	s_cbranch_execz .LBB21_16
; %bb.14:
	v_subrev_u32_e32 v3, 64, v0
	v_cmp_gt_i32_e64 s[0:1], s7, v3
	s_and_b64 exec, exec, s[0:1]
	s_cbranch_execz .LBB21_16
; %bb.15:
	v_add_u32_e32 v6, 0xfffffe00, v5
	ds_read_b64 v[3:4], v1
	ds_read_b64 v[6:7], v6
	s_waitcnt lgkmcnt(0)
	v_cmp_gt_u64_e64 s[0:1], v[3:4], v[6:7]
	v_cndmask_b32_e64 v4, v7, v4, s[0:1]
	v_cndmask_b32_e64 v3, v6, v3, s[0:1]
	ds_write_b64 v1, v[3:4]
.LBB21_16:
	s_or_b64 exec, exec, s[4:5]
.LBB21_17:
	s_andn2_saveexec_b64 s[2:3], s[2:3]
	s_cbranch_execz .LBB21_22
; %bb.18:
	v_cmp_gt_u32_e64 s[0:1], 64, v0
	s_and_saveexec_b64 s[4:5], s[0:1]
	s_cbranch_execz .LBB21_21
; %bb.19:
	v_or_b32_e32 v3, 64, v0
	v_cmp_gt_i32_e64 s[0:1], s7, v3
	s_and_b64 exec, exec, s[0:1]
	s_cbranch_execz .LBB21_21
; %bb.20:
	ds_read2st64_b64 v[6:9], v2 offset1:1
	s_waitcnt lgkmcnt(0)
	v_cmp_lt_u64_e64 s[0:1], v[6:7], v[8:9]
	v_cndmask_b32_e64 v4, v9, v7, s[0:1]
	v_cndmask_b32_e64 v3, v8, v6, s[0:1]
	ds_write_b64 v2, v[3:4]
.LBB21_21:
	s_or_b64 exec, exec, s[4:5]
.LBB21_22:
	s_or_b64 exec, exec, s[2:3]
	s_waitcnt lgkmcnt(0)
	s_barrier
	s_and_saveexec_b64 s[0:1], vcc
	s_xor_b64 s[2:3], exec, s[0:1]
	s_cbranch_execz .LBB21_27
; %bb.23:
	s_movk_i32 s0, 0xa0
	v_cmp_gt_u32_e64 s[0:1], s0, v0
	s_and_saveexec_b64 s[4:5], s[0:1]
	s_cbranch_execz .LBB21_26
; %bb.24:
	v_add_u32_e32 v3, 0xffffffa0, v0
	v_cmp_gt_i32_e64 s[0:1], s7, v3
	s_and_b64 exec, exec, s[0:1]
	s_cbranch_execz .LBB21_26
; %bb.25:
	v_add_u32_e32 v6, 0xfffffd00, v5
	ds_read_b64 v[3:4], v1
	ds_read_b64 v[6:7], v6
	s_waitcnt lgkmcnt(0)
	v_cmp_gt_u64_e64 s[0:1], v[3:4], v[6:7]
	v_cndmask_b32_e64 v4, v7, v4, s[0:1]
	v_cndmask_b32_e64 v3, v6, v3, s[0:1]
	ds_write_b64 v1, v[3:4]
.LBB21_26:
	s_or_b64 exec, exec, s[4:5]
.LBB21_27:
	s_andn2_saveexec_b64 s[2:3], s[2:3]
	s_cbranch_execz .LBB21_32
; %bb.28:
	v_cmp_gt_u32_e64 s[0:1], 32, v0
	s_and_saveexec_b64 s[4:5], s[0:1]
	s_cbranch_execz .LBB21_31
; %bb.29:
	v_or_b32_e32 v3, 32, v0
	v_cmp_gt_i32_e64 s[0:1], s7, v3
	s_and_b64 exec, exec, s[0:1]
	s_cbranch_execz .LBB21_31
; %bb.30:
	ds_read2_b64 v[6:9], v2 offset1:32
	s_waitcnt lgkmcnt(0)
	v_cmp_lt_u64_e64 s[0:1], v[6:7], v[8:9]
	v_cndmask_b32_e64 v4, v9, v7, s[0:1]
	v_cndmask_b32_e64 v3, v8, v6, s[0:1]
	ds_write_b64 v2, v[3:4]
.LBB21_31:
	s_or_b64 exec, exec, s[4:5]
.LBB21_32:
	s_or_b64 exec, exec, s[2:3]
	s_waitcnt lgkmcnt(0)
	s_barrier
	s_and_saveexec_b64 s[0:1], vcc
	s_xor_b64 s[2:3], exec, s[0:1]
	s_cbranch_execz .LBB21_37
; %bb.33:
	s_movk_i32 s0, 0x90
	v_cmp_gt_u32_e64 s[0:1], s0, v0
	s_and_saveexec_b64 s[4:5], s[0:1]
	s_cbranch_execz .LBB21_36
; %bb.34:
	v_add_u32_e32 v3, 0xffffff90, v0
	v_cmp_gt_i32_e64 s[0:1], s7, v3
	s_and_b64 exec, exec, s[0:1]
	s_cbranch_execz .LBB21_36
; %bb.35:
	v_add_u32_e32 v6, 0xfffffc80, v5
	ds_read_b64 v[3:4], v1
	ds_read_b64 v[6:7], v6
	s_waitcnt lgkmcnt(0)
	v_cmp_gt_u64_e64 s[0:1], v[3:4], v[6:7]
	v_cndmask_b32_e64 v4, v7, v4, s[0:1]
	v_cndmask_b32_e64 v3, v6, v3, s[0:1]
	ds_write_b64 v1, v[3:4]
.LBB21_36:
	s_or_b64 exec, exec, s[4:5]
.LBB21_37:
	s_andn2_saveexec_b64 s[2:3], s[2:3]
	s_cbranch_execz .LBB21_42
; %bb.38:
	v_cmp_gt_u32_e64 s[0:1], 16, v0
	s_and_saveexec_b64 s[4:5], s[0:1]
	s_cbranch_execz .LBB21_41
; %bb.39:
	v_or_b32_e32 v3, 16, v0
	v_cmp_gt_i32_e64 s[0:1], s7, v3
	s_and_b64 exec, exec, s[0:1]
	s_cbranch_execz .LBB21_41
; %bb.40:
	ds_read2_b64 v[6:9], v2 offset1:16
	s_waitcnt lgkmcnt(0)
	v_cmp_lt_u64_e64 s[0:1], v[6:7], v[8:9]
	v_cndmask_b32_e64 v4, v9, v7, s[0:1]
	v_cndmask_b32_e64 v3, v8, v6, s[0:1]
	ds_write_b64 v2, v[3:4]
.LBB21_41:
	s_or_b64 exec, exec, s[4:5]
.LBB21_42:
	;; [unrolled: 49-line block ×5, first 2 shown]
	s_or_b64 exec, exec, s[2:3]
	s_cmp_gt_i32 s7, 1
	s_cselect_b64 s[0:1], -1, 0
	s_waitcnt lgkmcnt(0)
	s_barrier
	s_and_saveexec_b64 s[2:3], vcc
	s_xor_b64 s[2:3], exec, s[2:3]
	s_cbranch_execz .LBB21_76
; %bb.73:
	s_movk_i32 s4, 0x80
	v_cmp_eq_u32_e32 vcc, s4, v0
	s_and_b64 s[12:13], vcc, s[0:1]
	s_and_saveexec_b64 s[4:5], s[12:13]
	s_cbranch_execz .LBB21_75
; %bb.74:
	v_mov_b32_e32 v4, 0
	ds_read_b64 v[2:3], v1
	ds_read_b64 v[4:5], v4 offset:8
	s_waitcnt lgkmcnt(0)
	v_cmp_gt_u64_e32 vcc, v[2:3], v[4:5]
	v_cndmask_b32_e32 v3, v5, v3, vcc
	v_cndmask_b32_e32 v2, v4, v2, vcc
	ds_write_b64 v1, v[2:3]
.LBB21_75:
	s_or_b64 exec, exec, s[4:5]
                                        ; implicit-def: $vgpr2
.LBB21_76:
	s_andn2_saveexec_b64 s[2:3], s[2:3]
	s_cbranch_execz .LBB21_80
; %bb.77:
	v_cmp_eq_u32_e32 vcc, 0, v0
	s_and_b64 s[4:5], vcc, s[0:1]
	s_and_saveexec_b64 s[0:1], s[4:5]
	s_cbranch_execz .LBB21_79
; %bb.78:
	v_mov_b32_e32 v1, 0
	ds_read_b64 v[3:4], v2
	ds_read_b64 v[5:6], v1 offset:2056
	s_waitcnt lgkmcnt(0)
	v_cmp_lt_u64_e32 vcc, v[3:4], v[5:6]
	v_cndmask_b32_e32 v4, v6, v4, vcc
	v_cndmask_b32_e32 v3, v5, v3, vcc
	ds_write_b64 v2, v[3:4]
.LBB21_79:
	s_or_b64 exec, exec, s[0:1]
.LBB21_80:
	s_or_b64 exec, exec, s[2:3]
	s_mov_b32 s7, 0
	v_cmp_eq_u32_e32 vcc, 0, v0
	s_waitcnt lgkmcnt(0)
	s_barrier
	s_and_saveexec_b64 s[0:1], vcc
	s_cbranch_execz .LBB21_82
; %bb.81:
	v_mov_b32_e32 v4, 0
	s_lshl_b64 s[0:1], s[6:7], 3
	ds_read2st64_b64 v[0:3], v4 offset1:4
	s_add_u32 s2, s10, s0
	s_addc_u32 s3, s11, s1
	s_add_u32 s0, s8, s0
	s_addc_u32 s1, s9, s1
	s_waitcnt lgkmcnt(0)
	global_store_dwordx2 v4, v[2:3], s[0:1]
	global_store_dwordx2 v4, v[0:1], s[2:3]
.LBB21_82:
	s_endpgm
.LBB21_83:
.LBB21_84:
	s_load_dword s4, s[4:5], 0x20
	s_lshl_b32 s1, s6, 8
	v_mov_b32_e32 v1, 0
	v_mov_b32_e32 v3, 0
	;; [unrolled: 1-line block ×3, first 2 shown]
	v_add_u32_e32 v5, s1, v0
	s_sub_i32 s5, s0, s1
	s_waitcnt lgkmcnt(0)
	s_lshl_b32 s15, s4, 8
	s_mov_b32 s16, 0
	v_mov_b32_e32 v6, 0
	v_mov_b32_e32 v4, 0
	s_mov_b32 s7, 0
	s_branch .LBB21_86
.LBB21_85:                              ;   in Loop: Header=BB21_86 Depth=1
	s_or_b64 exec, exec, s[2:3]
	s_add_i32 s16, s16, s4
	s_max_i32 s7, s7, s17
	s_add_i32 s0, s6, s16
	s_sub_i32 s5, s5, s15
	s_cmp_ge_i32 s0, s14
	v_add_u32_e32 v5, s15, v5
	s_cbranch_scc1 .LBB21_4
.LBB21_86:                              ; =>This Inner Loop Header: Depth=1
	s_min_i32 s17, s5, 0x100
	v_cmp_gt_u32_e32 vcc, s17, v0
	s_and_saveexec_b64 s[2:3], vcc
	s_cbranch_execz .LBB21_85
; %bb.87:                               ;   in Loop: Header=BB21_86 Depth=1
	v_lshlrev_b64 v[7:8], 3, v[5:6]
	v_mov_b32_e32 v9, s13
	v_add_co_u32_e32 v7, vcc, s12, v7
	v_addc_co_u32_e32 v8, vcc, v9, v8, vcc
	global_load_dwordx2 v[7:8], v[7:8], off
	s_cmp_eq_u32 s16, 0
	s_waitcnt vmcnt(0)
	v_cmp_lt_u64_e32 vcc, v[7:8], v[1:2]
	v_cmp_gt_u64_e64 s[0:1], v[7:8], v[3:4]
	v_cndmask_b32_e32 v1, v1, v7, vcc
	v_cndmask_b32_e64 v3, v3, v7, s[0:1]
	v_cndmask_b32_e32 v2, v2, v8, vcc
	v_cndmask_b32_e64 v4, v4, v8, s[0:1]
	s_cselect_b64 vcc, -1, 0
	v_cndmask_b32_e32 v4, v4, v8, vcc
	v_cndmask_b32_e32 v3, v3, v7, vcc
	;; [unrolled: 1-line block ×4, first 2 shown]
	s_branch .LBB21_85
	.section	.rodata,"a",@progbits
	.p2align	6, 0x0
	.amdhsa_kernel _Z23bitPackConfigScanKernelIyyEvPT_S1_PKT0_PKm
		.amdhsa_group_segment_fixed_size 4096
		.amdhsa_private_segment_fixed_size 0
		.amdhsa_kernarg_size 288
		.amdhsa_user_sgpr_count 6
		.amdhsa_user_sgpr_private_segment_buffer 1
		.amdhsa_user_sgpr_dispatch_ptr 0
		.amdhsa_user_sgpr_queue_ptr 0
		.amdhsa_user_sgpr_kernarg_segment_ptr 1
		.amdhsa_user_sgpr_dispatch_id 0
		.amdhsa_user_sgpr_flat_scratch_init 0
		.amdhsa_user_sgpr_private_segment_size 0
		.amdhsa_uses_dynamic_stack 0
		.amdhsa_system_sgpr_private_segment_wavefront_offset 0
		.amdhsa_system_sgpr_workgroup_id_x 1
		.amdhsa_system_sgpr_workgroup_id_y 0
		.amdhsa_system_sgpr_workgroup_id_z 0
		.amdhsa_system_sgpr_workgroup_info 0
		.amdhsa_system_vgpr_workitem_id 0
		.amdhsa_next_free_vgpr 29
		.amdhsa_next_free_sgpr 61
		.amdhsa_reserve_vcc 1
		.amdhsa_reserve_flat_scratch 0
		.amdhsa_float_round_mode_32 0
		.amdhsa_float_round_mode_16_64 0
		.amdhsa_float_denorm_mode_32 3
		.amdhsa_float_denorm_mode_16_64 3
		.amdhsa_dx10_clamp 1
		.amdhsa_ieee_mode 1
		.amdhsa_fp16_overflow 0
		.amdhsa_exception_fp_ieee_invalid_op 0
		.amdhsa_exception_fp_denorm_src 0
		.amdhsa_exception_fp_ieee_div_zero 0
		.amdhsa_exception_fp_ieee_overflow 0
		.amdhsa_exception_fp_ieee_underflow 0
		.amdhsa_exception_fp_ieee_inexact 0
		.amdhsa_exception_int_div_zero 0
	.end_amdhsa_kernel
	.section	.text._Z23bitPackConfigScanKernelIyyEvPT_S1_PKT0_PKm,"axG",@progbits,_Z23bitPackConfigScanKernelIyyEvPT_S1_PKT0_PKm,comdat
.Lfunc_end21:
	.size	_Z23bitPackConfigScanKernelIyyEvPT_S1_PKT0_PKm, .Lfunc_end21-_Z23bitPackConfigScanKernelIyyEvPT_S1_PKT0_PKm
                                        ; -- End function
	.set _Z23bitPackConfigScanKernelIyyEvPT_S1_PKT0_PKm.num_vgpr, 10
	.set _Z23bitPackConfigScanKernelIyyEvPT_S1_PKT0_PKm.num_agpr, 0
	.set _Z23bitPackConfigScanKernelIyyEvPT_S1_PKT0_PKm.numbered_sgpr, 18
	.set _Z23bitPackConfigScanKernelIyyEvPT_S1_PKT0_PKm.num_named_barrier, 0
	.set _Z23bitPackConfigScanKernelIyyEvPT_S1_PKT0_PKm.private_seg_size, 0
	.set _Z23bitPackConfigScanKernelIyyEvPT_S1_PKT0_PKm.uses_vcc, 1
	.set _Z23bitPackConfigScanKernelIyyEvPT_S1_PKT0_PKm.uses_flat_scratch, 0
	.set _Z23bitPackConfigScanKernelIyyEvPT_S1_PKT0_PKm.has_dyn_sized_stack, 0
	.set _Z23bitPackConfigScanKernelIyyEvPT_S1_PKT0_PKm.has_recursion, 0
	.set _Z23bitPackConfigScanKernelIyyEvPT_S1_PKT0_PKm.has_indirect_call, 0
	.section	.AMDGPU.csdata,"",@progbits
; Kernel info:
; codeLenInByte = 2112
; TotalNumSgprs: 22
; NumVgprs: 10
; ScratchSize: 0
; MemoryBound: 0
; FloatMode: 240
; IeeeMode: 1
; LDSByteSize: 4096 bytes/workgroup (compile time only)
; SGPRBlocks: 8
; VGPRBlocks: 7
; NumSGPRsForWavesPerEU: 65
; NumVGPRsForWavesPerEU: 29
; Occupancy: 8
; WaveLimiterHint : 0
; COMPUTE_PGM_RSRC2:SCRATCH_EN: 0
; COMPUTE_PGM_RSRC2:USER_SGPR: 6
; COMPUTE_PGM_RSRC2:TRAP_HANDLER: 0
; COMPUTE_PGM_RSRC2:TGID_X_EN: 1
; COMPUTE_PGM_RSRC2:TGID_Y_EN: 0
; COMPUTE_PGM_RSRC2:TGID_Z_EN: 0
; COMPUTE_PGM_RSRC2:TIDIG_COMP_CNT: 0
	.section	.text._Z27bitPackConfigFinalizeKernelIyyEvPKT_S2_PhPT0_PKm,"axG",@progbits,_Z27bitPackConfigFinalizeKernelIyyEvPKT_S2_PhPT0_PKm,comdat
	.protected	_Z27bitPackConfigFinalizeKernelIyyEvPKT_S2_PhPT0_PKm ; -- Begin function _Z27bitPackConfigFinalizeKernelIyyEvPKT_S2_PhPT0_PKm
	.globl	_Z27bitPackConfigFinalizeKernelIyyEvPKT_S2_PhPT0_PKm
	.p2align	8
	.type	_Z27bitPackConfigFinalizeKernelIyyEvPKT_S2_PhPT0_PKm,@function
_Z27bitPackConfigFinalizeKernelIyyEvPKT_S2_PhPT0_PKm: ; @_Z27bitPackConfigFinalizeKernelIyyEvPKT_S2_PhPT0_PKm
; %bb.0:
	s_load_dwordx2 s[0:1], s[4:5], 0x20
	s_mov_b32 s3, 0
	s_load_dwordx8 s[8:15], s[4:5], 0x0
	v_mov_b32_e32 v3, 0x1000
	v_lshlrev_b32_e32 v11, 3, v0
	s_waitcnt lgkmcnt(0)
	s_load_dwordx2 s[0:1], s[0:1], 0x0
	s_waitcnt lgkmcnt(0)
	s_lshr_b64 s[4:5], s[0:1], 8
	s_and_b32 s2, s0, 0xff
	s_cmp_lg_u64 s[2:3], 0
	s_cselect_b64 s[0:1], -1, 0
	v_cndmask_b32_e64 v1, 0, 1, s[0:1]
	v_mov_b32_e32 v2, s5
	v_add_co_u32_e32 v1, vcc, s4, v1
	v_addc_co_u32_e32 v2, vcc, 0, v2, vcc
	s_mov_b64 s[0:1], 0x1000
	v_cmp_gt_u64_e32 vcc, s[0:1], v[1:2]
	v_cndmask_b32_e32 v12, v3, v1, vcc
	v_cmp_lt_u32_e32 vcc, v0, v12
	s_and_saveexec_b64 s[4:5], vcc
	s_cbranch_execz .LBB22_6
; %bb.1:
	global_load_dwordx2 v[3:4], v11, s[8:9]
	global_load_dwordx2 v[5:6], v11, s[10:11]
	v_add_u32_e32 v13, 0x100, v0
	v_cmp_lt_u32_e32 vcc, v13, v12
	s_and_saveexec_b64 s[6:7], vcc
	s_cbranch_execz .LBB22_5
; %bb.2:
	v_add_co_u32_e32 v9, vcc, 0x800, v11
	v_addc_co_u32_e64 v10, s[0:1], 0, 0, vcc
	v_mov_b32_e32 v8, s9
	v_add_co_u32_e32 v7, vcc, s8, v9
	v_addc_co_u32_e32 v8, vcc, v8, v10, vcc
	v_mov_b32_e32 v14, s11
	v_add_co_u32_e32 v9, vcc, s10, v9
	v_addc_co_u32_e32 v10, vcc, v14, v10, vcc
	s_mov_b64 s[8:9], 0
	s_movk_i32 s10, 0xeff
.LBB22_3:                               ; =>This Inner Loop Header: Depth=1
	global_load_dwordx2 v[14:15], v[7:8], off
	global_load_dwordx2 v[16:17], v[9:10], off
	v_add_u32_e32 v18, 0x100, v13
	v_add_co_u32_e32 v7, vcc, 0x800, v7
	v_cmp_lt_u32_e64 s[0:1], s10, v13
	v_cmp_ge_u32_e64 s[2:3], v18, v12
	v_addc_co_u32_e32 v8, vcc, 0, v8, vcc
	v_add_co_u32_e32 v9, vcc, 0x800, v9
	s_or_b64 s[0:1], s[0:1], s[2:3]
	v_addc_co_u32_e32 v10, vcc, 0, v10, vcc
	s_and_b64 s[0:1], exec, s[0:1]
	s_or_b64 s[8:9], s[0:1], s[8:9]
	v_mov_b32_e32 v13, v18
	s_waitcnt vmcnt(1)
	v_cmp_lt_u64_e32 vcc, v[14:15], v[3:4]
	s_waitcnt vmcnt(0)
	v_cmp_gt_u64_e64 s[0:1], v[16:17], v[5:6]
	v_cndmask_b32_e32 v4, v4, v15, vcc
	v_cndmask_b32_e64 v6, v6, v17, s[0:1]
	v_cndmask_b32_e32 v3, v3, v14, vcc
	v_cndmask_b32_e64 v5, v5, v16, s[0:1]
	s_andn2_b64 exec, exec, s[8:9]
	s_cbranch_execnz .LBB22_3
; %bb.4:
	s_or_b64 exec, exec, s[8:9]
.LBB22_5:
	s_or_b64 exec, exec, s[6:7]
	s_waitcnt vmcnt(0)
	ds_write2st64_b64 v11, v[5:6], v[3:4] offset1:4
.LBB22_6:
	s_or_b64 exec, exec, s[4:5]
	s_movk_i32 s0, 0x7f
	v_min_u32_e32 v5, 0x100, v12
	v_cmp_lt_u32_e32 vcc, s0, v0
	v_add_u32_e32 v3, 0xfffffc00, v11
	s_waitcnt lgkmcnt(0)
	s_barrier
	s_and_saveexec_b64 s[0:1], vcc
	s_xor_b64 s[2:3], exec, s[0:1]
	s_cbranch_execz .LBB22_10
; %bb.7:
	v_cmp_lt_u32_e64 s[0:1], v0, v5
	s_and_saveexec_b64 s[4:5], s[0:1]
	s_cbranch_execz .LBB22_9
; %bb.8:
	ds_read_b64 v[6:7], v3
	ds_read_b64 v[8:9], v11
	s_waitcnt lgkmcnt(0)
	v_cmp_gt_u64_e64 s[0:1], v[6:7], v[8:9]
	v_cndmask_b32_e64 v7, v9, v7, s[0:1]
	v_cndmask_b32_e64 v6, v8, v6, s[0:1]
	ds_write_b64 v3, v[6:7]
.LBB22_9:
	s_or_b64 exec, exec, s[4:5]
.LBB22_10:
	s_or_saveexec_b64 s[2:3], s[2:3]
	v_add_u32_e32 v4, 0x800, v11
	s_xor_b64 exec, exec, s[2:3]
	s_cbranch_execz .LBB22_14
; %bb.11:
	v_or_b32_e32 v6, 0x80, v0
	v_cmp_lt_u32_e64 s[0:1], v6, v5
	s_and_saveexec_b64 s[4:5], s[0:1]
	s_cbranch_execz .LBB22_13
; %bb.12:
	ds_read2st64_b64 v[6:9], v4 offset1:2
	s_waitcnt lgkmcnt(0)
	v_cmp_lt_u64_e64 s[0:1], v[6:7], v[8:9]
	v_cndmask_b32_e64 v7, v9, v7, s[0:1]
	v_cndmask_b32_e64 v6, v8, v6, s[0:1]
	ds_write_b64 v4, v[6:7]
.LBB22_13:
	s_or_b64 exec, exec, s[4:5]
.LBB22_14:
	s_or_b64 exec, exec, s[2:3]
	s_waitcnt lgkmcnt(0)
	s_barrier
	s_and_saveexec_b64 s[0:1], vcc
	s_xor_b64 s[2:3], exec, s[0:1]
	s_cbranch_execz .LBB22_19
; %bb.15:
	s_movk_i32 s0, 0xc0
	v_cmp_gt_u32_e64 s[0:1], s0, v0
	s_and_saveexec_b64 s[4:5], s[0:1]
	s_cbranch_execz .LBB22_18
; %bb.16:
	v_subrev_u32_e32 v6, 64, v0
	v_cmp_lt_u32_e64 s[0:1], v6, v5
	s_and_b64 exec, exec, s[0:1]
	s_cbranch_execz .LBB22_18
; %bb.17:
	v_add_u32_e32 v8, 0xfffffe00, v11
	ds_read_b64 v[6:7], v3
	ds_read_b64 v[8:9], v8
	s_waitcnt lgkmcnt(0)
	v_cmp_gt_u64_e64 s[0:1], v[6:7], v[8:9]
	v_cndmask_b32_e64 v7, v9, v7, s[0:1]
	v_cndmask_b32_e64 v6, v8, v6, s[0:1]
	ds_write_b64 v3, v[6:7]
.LBB22_18:
	s_or_b64 exec, exec, s[4:5]
.LBB22_19:
	s_andn2_saveexec_b64 s[2:3], s[2:3]
	s_cbranch_execz .LBB22_24
; %bb.20:
	v_cmp_gt_u32_e64 s[0:1], 64, v0
	s_and_saveexec_b64 s[4:5], s[0:1]
	s_cbranch_execz .LBB22_23
; %bb.21:
	v_or_b32_e32 v6, 64, v0
	v_cmp_lt_u32_e64 s[0:1], v6, v5
	s_and_b64 exec, exec, s[0:1]
	s_cbranch_execz .LBB22_23
; %bb.22:
	ds_read2st64_b64 v[6:9], v4 offset1:1
	s_waitcnt lgkmcnt(0)
	v_cmp_lt_u64_e64 s[0:1], v[6:7], v[8:9]
	v_cndmask_b32_e64 v7, v9, v7, s[0:1]
	v_cndmask_b32_e64 v6, v8, v6, s[0:1]
	ds_write_b64 v4, v[6:7]
.LBB22_23:
	s_or_b64 exec, exec, s[4:5]
.LBB22_24:
	s_or_b64 exec, exec, s[2:3]
	s_waitcnt lgkmcnt(0)
	s_barrier
	s_and_saveexec_b64 s[0:1], vcc
	s_xor_b64 s[2:3], exec, s[0:1]
	s_cbranch_execz .LBB22_29
; %bb.25:
	s_movk_i32 s0, 0xa0
	v_cmp_gt_u32_e64 s[0:1], s0, v0
	s_and_saveexec_b64 s[4:5], s[0:1]
	s_cbranch_execz .LBB22_28
; %bb.26:
	v_add_u32_e32 v6, 0xffffffa0, v0
	v_cmp_lt_u32_e64 s[0:1], v6, v5
	s_and_b64 exec, exec, s[0:1]
	s_cbranch_execz .LBB22_28
; %bb.27:
	v_add_u32_e32 v8, 0xfffffd00, v11
	ds_read_b64 v[6:7], v3
	ds_read_b64 v[8:9], v8
	s_waitcnt lgkmcnt(0)
	v_cmp_gt_u64_e64 s[0:1], v[6:7], v[8:9]
	v_cndmask_b32_e64 v7, v9, v7, s[0:1]
	v_cndmask_b32_e64 v6, v8, v6, s[0:1]
	ds_write_b64 v3, v[6:7]
.LBB22_28:
	s_or_b64 exec, exec, s[4:5]
.LBB22_29:
	s_andn2_saveexec_b64 s[2:3], s[2:3]
	s_cbranch_execz .LBB22_34
; %bb.30:
	v_cmp_gt_u32_e64 s[0:1], 32, v0
	s_and_saveexec_b64 s[4:5], s[0:1]
	s_cbranch_execz .LBB22_33
; %bb.31:
	v_or_b32_e32 v6, 32, v0
	v_cmp_lt_u32_e64 s[0:1], v6, v5
	s_and_b64 exec, exec, s[0:1]
	s_cbranch_execz .LBB22_33
; %bb.32:
	ds_read2_b64 v[6:9], v4 offset1:32
	s_waitcnt lgkmcnt(0)
	v_cmp_lt_u64_e64 s[0:1], v[6:7], v[8:9]
	v_cndmask_b32_e64 v7, v9, v7, s[0:1]
	v_cndmask_b32_e64 v6, v8, v6, s[0:1]
	ds_write_b64 v4, v[6:7]
.LBB22_33:
	s_or_b64 exec, exec, s[4:5]
.LBB22_34:
	s_or_b64 exec, exec, s[2:3]
	s_waitcnt lgkmcnt(0)
	s_barrier
	s_and_saveexec_b64 s[0:1], vcc
	s_xor_b64 s[2:3], exec, s[0:1]
	s_cbranch_execz .LBB22_39
; %bb.35:
	s_movk_i32 s0, 0x90
	v_cmp_gt_u32_e64 s[0:1], s0, v0
	s_and_saveexec_b64 s[4:5], s[0:1]
	s_cbranch_execz .LBB22_38
; %bb.36:
	v_add_u32_e32 v6, 0xffffff90, v0
	v_cmp_lt_u32_e64 s[0:1], v6, v5
	s_and_b64 exec, exec, s[0:1]
	s_cbranch_execz .LBB22_38
; %bb.37:
	v_add_u32_e32 v8, 0xfffffc80, v11
	ds_read_b64 v[6:7], v3
	ds_read_b64 v[8:9], v8
	s_waitcnt lgkmcnt(0)
	v_cmp_gt_u64_e64 s[0:1], v[6:7], v[8:9]
	v_cndmask_b32_e64 v7, v9, v7, s[0:1]
	v_cndmask_b32_e64 v6, v8, v6, s[0:1]
	ds_write_b64 v3, v[6:7]
.LBB22_38:
	s_or_b64 exec, exec, s[4:5]
.LBB22_39:
	s_andn2_saveexec_b64 s[2:3], s[2:3]
	s_cbranch_execz .LBB22_44
; %bb.40:
	v_cmp_gt_u32_e64 s[0:1], 16, v0
	s_and_saveexec_b64 s[4:5], s[0:1]
	s_cbranch_execz .LBB22_43
; %bb.41:
	v_or_b32_e32 v6, 16, v0
	v_cmp_lt_u32_e64 s[0:1], v6, v5
	s_and_b64 exec, exec, s[0:1]
	s_cbranch_execz .LBB22_43
; %bb.42:
	ds_read2_b64 v[6:9], v4 offset1:16
	s_waitcnt lgkmcnt(0)
	v_cmp_lt_u64_e64 s[0:1], v[6:7], v[8:9]
	v_cndmask_b32_e64 v7, v9, v7, s[0:1]
	v_cndmask_b32_e64 v6, v8, v6, s[0:1]
	ds_write_b64 v4, v[6:7]
.LBB22_43:
	s_or_b64 exec, exec, s[4:5]
.LBB22_44:
	;; [unrolled: 49-line block ×4, first 2 shown]
	s_or_b64 exec, exec, s[2:3]
	s_waitcnt lgkmcnt(0)
	s_barrier
	s_and_saveexec_b64 s[0:1], vcc
	s_xor_b64 s[2:3], exec, s[0:1]
	s_cbranch_execz .LBB22_69
; %bb.65:
	s_movk_i32 s0, 0x82
	v_cmp_gt_u32_e64 s[0:1], s0, v0
	s_and_saveexec_b64 s[4:5], s[0:1]
	s_cbranch_execz .LBB22_68
; %bb.66:
	v_add_u32_e32 v6, 0xffffff82, v0
	v_cmp_lt_u32_e64 s[0:1], v6, v5
	s_and_b64 exec, exec, s[0:1]
	s_cbranch_execz .LBB22_68
; %bb.67:
	v_add_u32_e32 v7, 0xfffffc10, v11
	ds_read_b64 v[5:6], v3
	ds_read_b64 v[7:8], v7
	s_waitcnt lgkmcnt(0)
	v_cmp_gt_u64_e64 s[0:1], v[5:6], v[7:8]
	v_cndmask_b32_e64 v6, v8, v6, s[0:1]
	v_cndmask_b32_e64 v5, v7, v5, s[0:1]
	ds_write_b64 v3, v[5:6]
.LBB22_68:
	s_or_b64 exec, exec, s[4:5]
                                        ; implicit-def: $vgpr5
.LBB22_69:
	s_andn2_saveexec_b64 s[2:3], s[2:3]
	s_cbranch_execz .LBB22_74
; %bb.70:
	v_cmp_gt_u32_e64 s[0:1], 2, v0
	s_and_saveexec_b64 s[4:5], s[0:1]
	s_cbranch_execz .LBB22_73
; %bb.71:
	v_or_b32_e32 v6, 2, v0
	v_cmp_lt_u32_e64 s[0:1], v6, v5
	s_and_b64 exec, exec, s[0:1]
	s_cbranch_execz .LBB22_73
; %bb.72:
	ds_read2_b64 v[5:8], v4 offset1:2
	s_waitcnt lgkmcnt(0)
	v_cmp_lt_u64_e64 s[0:1], v[5:6], v[7:8]
	v_cndmask_b32_e64 v6, v8, v6, s[0:1]
	v_cndmask_b32_e64 v5, v7, v5, s[0:1]
	ds_write_b64 v4, v[5:6]
.LBB22_73:
	s_or_b64 exec, exec, s[4:5]
.LBB22_74:
	s_or_b64 exec, exec, s[2:3]
	v_cmp_lt_u64_e64 s[0:1], 1, v[1:2]
	s_waitcnt lgkmcnt(0)
	s_barrier
	s_and_saveexec_b64 s[2:3], vcc
	s_xor_b64 s[2:3], exec, s[2:3]
	s_cbranch_execz .LBB22_78
; %bb.75:
	s_movk_i32 s4, 0x80
	v_cmp_eq_u32_e32 vcc, s4, v0
	s_and_b64 s[6:7], vcc, s[0:1]
	s_and_saveexec_b64 s[4:5], s[6:7]
	s_cbranch_execz .LBB22_77
; %bb.76:
	v_mov_b32_e32 v4, 0
	ds_read_b64 v[1:2], v3
	ds_read_b64 v[4:5], v4 offset:8
	s_waitcnt lgkmcnt(0)
	v_cmp_gt_u64_e32 vcc, v[1:2], v[4:5]
	v_cndmask_b32_e32 v2, v5, v2, vcc
	v_cndmask_b32_e32 v1, v4, v1, vcc
	ds_write_b64 v3, v[1:2]
.LBB22_77:
	s_or_b64 exec, exec, s[4:5]
                                        ; implicit-def: $vgpr4
.LBB22_78:
	s_andn2_saveexec_b64 s[2:3], s[2:3]
	s_cbranch_execz .LBB22_82
; %bb.79:
	v_cmp_eq_u32_e32 vcc, 0, v0
	s_and_b64 s[4:5], vcc, s[0:1]
	s_and_saveexec_b64 s[0:1], s[4:5]
	s_cbranch_execz .LBB22_81
; %bb.80:
	v_mov_b32_e32 v3, 0
	ds_read_b64 v[1:2], v4
	ds_read_b64 v[5:6], v3 offset:2056
	s_waitcnt lgkmcnt(0)
	v_cmp_lt_u64_e32 vcc, v[1:2], v[5:6]
	v_cndmask_b32_e32 v2, v6, v2, vcc
	v_cndmask_b32_e32 v1, v5, v1, vcc
	ds_write_b64 v4, v[1:2]
.LBB22_81:
	s_or_b64 exec, exec, s[0:1]
.LBB22_82:
	s_or_b64 exec, exec, s[2:3]
	v_cmp_eq_u32_e32 vcc, 0, v0
	s_waitcnt lgkmcnt(0)
	s_barrier
	s_and_saveexec_b64 s[0:1], vcc
	s_cbranch_execz .LBB22_84
; %bb.83:
	v_mov_b32_e32 v4, 0
	ds_read2st64_b64 v[0:3], v4 offset1:4
	s_waitcnt lgkmcnt(0)
	v_sub_co_u32_e32 v0, vcc, v0, v2
	v_subb_co_u32_e32 v1, vcc, v1, v3, vcc
	v_ffbh_u32_e32 v0, v0
	v_ffbh_u32_e32 v1, v1
	v_add_u32_e64 v0, v0, 32 clamp
	v_min_u32_e32 v0, v0, v1
	v_sub_u32_e64 v0, 64, v0 clamp
	global_store_dwordx2 v4, v[2:3], s[14:15]
	global_store_byte v4, v0, s[12:13]
.LBB22_84:
	s_endpgm
	.section	.rodata,"a",@progbits
	.p2align	6, 0x0
	.amdhsa_kernel _Z27bitPackConfigFinalizeKernelIyyEvPKT_S2_PhPT0_PKm
		.amdhsa_group_segment_fixed_size 4096
		.amdhsa_private_segment_fixed_size 0
		.amdhsa_kernarg_size 40
		.amdhsa_user_sgpr_count 6
		.amdhsa_user_sgpr_private_segment_buffer 1
		.amdhsa_user_sgpr_dispatch_ptr 0
		.amdhsa_user_sgpr_queue_ptr 0
		.amdhsa_user_sgpr_kernarg_segment_ptr 1
		.amdhsa_user_sgpr_dispatch_id 0
		.amdhsa_user_sgpr_flat_scratch_init 0
		.amdhsa_user_sgpr_private_segment_size 0
		.amdhsa_uses_dynamic_stack 0
		.amdhsa_system_sgpr_private_segment_wavefront_offset 0
		.amdhsa_system_sgpr_workgroup_id_x 1
		.amdhsa_system_sgpr_workgroup_id_y 0
		.amdhsa_system_sgpr_workgroup_id_z 0
		.amdhsa_system_sgpr_workgroup_info 0
		.amdhsa_system_vgpr_workitem_id 0
		.amdhsa_next_free_vgpr 29
		.amdhsa_next_free_sgpr 61
		.amdhsa_reserve_vcc 1
		.amdhsa_reserve_flat_scratch 0
		.amdhsa_float_round_mode_32 0
		.amdhsa_float_round_mode_16_64 0
		.amdhsa_float_denorm_mode_32 3
		.amdhsa_float_denorm_mode_16_64 3
		.amdhsa_dx10_clamp 1
		.amdhsa_ieee_mode 1
		.amdhsa_fp16_overflow 0
		.amdhsa_exception_fp_ieee_invalid_op 0
		.amdhsa_exception_fp_denorm_src 0
		.amdhsa_exception_fp_ieee_div_zero 0
		.amdhsa_exception_fp_ieee_overflow 0
		.amdhsa_exception_fp_ieee_underflow 0
		.amdhsa_exception_fp_ieee_inexact 0
		.amdhsa_exception_int_div_zero 0
	.end_amdhsa_kernel
	.section	.text._Z27bitPackConfigFinalizeKernelIyyEvPKT_S2_PhPT0_PKm,"axG",@progbits,_Z27bitPackConfigFinalizeKernelIyyEvPKT_S2_PhPT0_PKm,comdat
.Lfunc_end22:
	.size	_Z27bitPackConfigFinalizeKernelIyyEvPKT_S2_PhPT0_PKm, .Lfunc_end22-_Z27bitPackConfigFinalizeKernelIyyEvPKT_S2_PhPT0_PKm
                                        ; -- End function
	.set _Z27bitPackConfigFinalizeKernelIyyEvPKT_S2_PhPT0_PKm.num_vgpr, 19
	.set _Z27bitPackConfigFinalizeKernelIyyEvPKT_S2_PhPT0_PKm.num_agpr, 0
	.set _Z27bitPackConfigFinalizeKernelIyyEvPKT_S2_PhPT0_PKm.numbered_sgpr, 16
	.set _Z27bitPackConfigFinalizeKernelIyyEvPKT_S2_PhPT0_PKm.num_named_barrier, 0
	.set _Z27bitPackConfigFinalizeKernelIyyEvPKT_S2_PhPT0_PKm.private_seg_size, 0
	.set _Z27bitPackConfigFinalizeKernelIyyEvPKT_S2_PhPT0_PKm.uses_vcc, 1
	.set _Z27bitPackConfigFinalizeKernelIyyEvPKT_S2_PhPT0_PKm.uses_flat_scratch, 0
	.set _Z27bitPackConfigFinalizeKernelIyyEvPKT_S2_PhPT0_PKm.has_dyn_sized_stack, 0
	.set _Z27bitPackConfigFinalizeKernelIyyEvPKT_S2_PhPT0_PKm.has_recursion, 0
	.set _Z27bitPackConfigFinalizeKernelIyyEvPKT_S2_PhPT0_PKm.has_indirect_call, 0
	.section	.AMDGPU.csdata,"",@progbits
; Kernel info:
; codeLenInByte = 2172
; TotalNumSgprs: 20
; NumVgprs: 19
; ScratchSize: 0
; MemoryBound: 0
; FloatMode: 240
; IeeeMode: 1
; LDSByteSize: 4096 bytes/workgroup (compile time only)
; SGPRBlocks: 8
; VGPRBlocks: 7
; NumSGPRsForWavesPerEU: 65
; NumVGPRsForWavesPerEU: 29
; Occupancy: 8
; WaveLimiterHint : 0
; COMPUTE_PGM_RSRC2:SCRATCH_EN: 0
; COMPUTE_PGM_RSRC2:USER_SGPR: 6
; COMPUTE_PGM_RSRC2:TRAP_HANDLER: 0
; COMPUTE_PGM_RSRC2:TGID_X_EN: 1
; COMPUTE_PGM_RSRC2:TGID_Y_EN: 0
; COMPUTE_PGM_RSRC2:TGID_Z_EN: 0
; COMPUTE_PGM_RSRC2:TIDIG_COMP_CNT: 0
	.section	.text._Z13bitPackKernelIymEvPKhPKT_PT0_S4_PKm,"axG",@progbits,_Z13bitPackKernelIymEvPKhPKT_PT0_S4_PKm,comdat
	.protected	_Z13bitPackKernelIymEvPKhPKT_PT0_S4_PKm ; -- Begin function _Z13bitPackKernelIymEvPKhPKT_PT0_S4_PKm
	.globl	_Z13bitPackKernelIymEvPKhPKT_PT0_S4_PKm
	.p2align	8
	.type	_Z13bitPackKernelIymEvPKhPKT_PT0_S4_PKm,@function
_Z13bitPackKernelIymEvPKhPKT_PT0_S4_PKm: ; @_Z13bitPackKernelIymEvPKhPKT_PT0_S4_PKm
; %bb.0:
	s_load_dwordx2 s[0:1], s[4:5], 0x20
	s_mov_b32 s16, 0
	s_mov_b32 s9, s16
	s_waitcnt lgkmcnt(0)
	s_load_dwordx2 s[2:3], s[0:1], 0x0
	s_waitcnt lgkmcnt(0)
	s_lshr_b64 s[0:1], s[2:3], 8
	s_and_b32 s8, s2, 0xff
	s_cmp_lg_u64 s[8:9], 0
	s_cselect_b64 s[8:9], -1, 0
	s_cmp_lg_u64 s[8:9], 0
	s_addc_u32 s7, s0, 0
	s_cmp_ge_i32 s6, s7
	s_cbranch_scc1 .LBB23_36
; %bb.1:
	s_load_dwordx8 s[8:15], s[4:5], 0x0
	v_mov_b32_e32 v1, 0
	v_mov_b32_e32 v4, 0x4f800000
	v_lshlrev_b32_e32 v16, 3, v0
	v_mov_b32_e32 v17, 0x100
	s_waitcnt lgkmcnt(0)
	global_load_ubyte v2, v1, s[8:9]
	s_load_dword s23, s[4:5], 0x28
	s_load_dwordx2 s[8:9], s[10:11], 0x0
	s_bfe_i64 s[4:5], s[2:3], 0x200000
	s_waitcnt vmcnt(0)
	v_readfirstlane_b32 s22, v2
	v_cvt_f32_u32_e32 v2, s22
	v_cvt_f32_u32_e32 v3, s22
	v_mac_f32_e32 v2, 0, v4
	v_rcp_f32_e32 v2, v2
	v_rcp_iflag_f32_e32 v3, v3
	v_mul_f32_e32 v2, 0x5f7ffffc, v2
	v_mul_f32_e32 v4, 0x2f800000, v2
	v_trunc_f32_e32 v4, v4
	v_mul_f32_e32 v3, 0x4f7ffffe, v3
	v_mac_f32_e32 v2, 0xcf800000, v4
	v_cvt_u32_f32_e32 v13, v4
	v_cvt_u32_f32_e32 v14, v2
	;; [unrolled: 1-line block ×3, first 2 shown]
	s_branch .LBB23_3
.LBB23_2:                               ;   in Loop: Header=BB23_3 Depth=1
	s_or_b64 exec, exec, s[0:1]
	s_waitcnt lgkmcnt(0)
	s_add_i32 s6, s23, s6
	s_cmp_ge_i32 s6, s7
	s_cbranch_scc1 .LBB23_36
.LBB23_3:                               ; =>This Loop Header: Depth=1
                                        ;     Child Loop BB23_19 Depth 2
                                        ;       Child Loop BB23_24 Depth 3
	s_lshl_b32 s10, s6, 8
	v_add_u32_e32 v3, s10, v0
	v_ashrrev_i32_e32 v4, 31, v3
	v_lshlrev_b64 v[5:6], 6, v[3:4]
                                        ; implicit-def: $vgpr7_vgpr8
	v_mov_b32_e32 v2, v6
	v_cmp_ne_u64_e32 vcc, 0, v[1:2]
	s_and_saveexec_b64 s[0:1], vcc
	s_xor_b64 s[18:19], exec, s[0:1]
	s_cbranch_execz .LBB23_5
; %bb.4:                                ;   in Loop: Header=BB23_3 Depth=1
	s_sub_u32 s11, 0, s22
	v_readfirstlane_b32 s0, v14
	v_readfirstlane_b32 s21, v13
	s_subb_u32 s17, 0, 0
	s_mul_hi_u32 s20, s11, s0
	s_mul_i32 s24, s11, s21
	s_mul_i32 s1, s17, s0
	s_add_i32 s20, s20, s24
	s_add_i32 s20, s20, s1
	s_mul_i32 s25, s11, s0
	s_mul_i32 s24, s0, s20
	s_mul_hi_u32 s26, s0, s25
	s_mul_hi_u32 s1, s0, s20
	s_add_u32 s24, s26, s24
	s_addc_u32 s1, 0, s1
	s_mul_hi_u32 s27, s21, s25
	s_mul_i32 s25, s21, s25
	s_add_u32 s24, s24, s25
	s_mul_hi_u32 s26, s21, s20
	s_addc_u32 s1, s1, s27
	s_addc_u32 s24, s26, 0
	s_mul_i32 s20, s21, s20
	s_add_u32 s1, s1, s20
	s_addc_u32 s20, 0, s24
	s_add_u32 s24, s0, s1
	s_cselect_b64 s[0:1], -1, 0
	s_cmp_lg_u64 s[0:1], 0
	s_addc_u32 s20, s21, s20
	s_mul_i32 s0, s11, s20
	s_mul_hi_u32 s1, s11, s24
	s_add_i32 s0, s1, s0
	s_mul_i32 s17, s17, s24
	s_add_i32 s0, s0, s17
	s_mul_i32 s11, s11, s24
	s_mul_hi_u32 s17, s20, s11
	s_mul_i32 s21, s20, s11
	s_mul_i32 s26, s24, s0
	s_mul_hi_u32 s11, s24, s11
	s_mul_hi_u32 s25, s24, s0
	s_add_u32 s11, s11, s26
	s_addc_u32 s25, 0, s25
	s_add_u32 s11, s11, s21
	s_mul_hi_u32 s1, s20, s0
	s_addc_u32 s11, s25, s17
	s_addc_u32 s1, s1, 0
	s_mul_i32 s0, s20, s0
	s_add_u32 s0, s11, s0
	s_addc_u32 s11, 0, s1
	s_add_u32 s17, s24, s0
	s_cselect_b64 s[0:1], -1, 0
	s_cmp_lg_u64 s[0:1], 0
	s_addc_u32 s11, s20, s11
	v_mad_u64_u32 v[7:8], s[0:1], v5, s11, 0
	v_mul_hi_u32 v2, v5, s17
	v_mad_u64_u32 v[9:10], s[0:1], v6, s11, 0
	v_add_co_u32_e32 v2, vcc, v2, v7
	v_addc_co_u32_e32 v11, vcc, 0, v8, vcc
	v_mad_u64_u32 v[7:8], s[0:1], v6, s17, 0
	v_add_co_u32_e32 v2, vcc, v2, v7
	v_addc_co_u32_e32 v2, vcc, v11, v8, vcc
	v_addc_co_u32_e32 v7, vcc, 0, v10, vcc
	v_add_co_u32_e32 v10, vcc, v2, v9
	v_addc_co_u32_e32 v11, vcc, 0, v7, vcc
	v_mad_u64_u32 v[7:8], s[0:1], s22, v10, 0
	v_mov_b32_e32 v2, v8
	v_mad_u64_u32 v[8:9], s[0:1], s22, v11, v[2:3]
	v_sub_co_u32_e32 v2, vcc, v5, v7
	v_subb_co_u32_e32 v7, vcc, v6, v8, vcc
	v_subrev_co_u32_e32 v8, vcc, s22, v2
	v_subbrev_co_u32_e32 v9, vcc, 0, v7, vcc
	v_cmp_le_u32_e32 vcc, s22, v8
	v_cndmask_b32_e64 v8, 0, -1, vcc
	v_cmp_eq_u32_e32 vcc, 0, v9
	v_cndmask_b32_e32 v8, -1, v8, vcc
	v_add_co_u32_e32 v9, vcc, 2, v10
	v_addc_co_u32_e32 v12, vcc, 0, v11, vcc
	v_add_co_u32_e32 v18, vcc, 1, v10
	v_cmp_le_u32_e64 s[0:1], s22, v2
	v_addc_co_u32_e32 v19, vcc, 0, v11, vcc
	v_cndmask_b32_e64 v2, 0, -1, s[0:1]
	v_cmp_eq_u32_e64 s[0:1], 0, v7
	v_cmp_ne_u32_e32 vcc, 0, v8
	v_cndmask_b32_e64 v2, -1, v2, s[0:1]
	v_cndmask_b32_e32 v8, v19, v12, vcc
	v_cmp_ne_u32_e64 s[0:1], 0, v2
	v_cndmask_b32_e32 v2, v18, v9, vcc
	v_cndmask_b32_e64 v8, v11, v8, s[0:1]
	v_cndmask_b32_e64 v7, v10, v2, s[0:1]
.LBB23_5:                               ;   in Loop: Header=BB23_3 Depth=1
	s_andn2_saveexec_b64 s[0:1], s[18:19]
	s_cbranch_execz .LBB23_7
; %bb.6:                                ;   in Loop: Header=BB23_3 Depth=1
	s_sub_i32 s11, 0, s22
	v_mul_lo_u32 v2, s11, v15
	v_mul_hi_u32 v2, v15, v2
	v_add_u32_e32 v2, v15, v2
	v_mul_hi_u32 v2, v5, v2
	v_mul_lo_u32 v7, v2, s22
	v_add_u32_e32 v8, 1, v2
	v_sub_u32_e32 v7, v5, v7
	v_subrev_u32_e32 v9, s22, v7
	v_cmp_le_u32_e32 vcc, s22, v7
	v_cndmask_b32_e32 v7, v7, v9, vcc
	v_cndmask_b32_e32 v2, v2, v8, vcc
	v_add_u32_e32 v8, 1, v2
	v_cmp_le_u32_e32 vcc, s22, v7
	v_cndmask_b32_e32 v7, v2, v8, vcc
	v_mov_b32_e32 v8, v1
.LBB23_7:                               ;   in Loop: Header=BB23_3 Depth=1
	s_or_b64 exec, exec, s[0:1]
	v_add_co_u32_e32 v18, vcc, 64, v5
	v_addc_co_u32_e32 v2, vcc, 0, v6, vcc
	v_cmp_ne_u64_e32 vcc, 0, v[1:2]
                                        ; implicit-def: $vgpr9_vgpr10
	s_and_saveexec_b64 s[0:1], vcc
	s_xor_b64 s[18:19], exec, s[0:1]
	s_cbranch_execz .LBB23_9
; %bb.8:                                ;   in Loop: Header=BB23_3 Depth=1
	s_sub_u32 s11, 0, s22
	v_readfirstlane_b32 s0, v14
	v_readfirstlane_b32 s21, v13
	s_subb_u32 s17, 0, 0
	s_mul_hi_u32 s20, s11, s0
	s_mul_i32 s24, s11, s21
	s_mul_i32 s1, s17, s0
	s_add_i32 s20, s20, s24
	s_add_i32 s20, s20, s1
	s_mul_i32 s25, s11, s0
	s_mul_i32 s24, s0, s20
	s_mul_hi_u32 s26, s0, s25
	s_mul_hi_u32 s1, s0, s20
	s_add_u32 s24, s26, s24
	s_addc_u32 s1, 0, s1
	s_mul_hi_u32 s27, s21, s25
	s_mul_i32 s25, s21, s25
	s_add_u32 s24, s24, s25
	s_mul_hi_u32 s26, s21, s20
	s_addc_u32 s1, s1, s27
	s_addc_u32 s24, s26, 0
	s_mul_i32 s20, s21, s20
	s_add_u32 s1, s1, s20
	s_addc_u32 s20, 0, s24
	s_add_u32 s24, s0, s1
	s_cselect_b64 s[0:1], -1, 0
	s_cmp_lg_u64 s[0:1], 0
	s_addc_u32 s20, s21, s20
	s_mul_i32 s0, s11, s20
	s_mul_hi_u32 s1, s11, s24
	s_add_i32 s0, s1, s0
	s_mul_i32 s17, s17, s24
	s_add_i32 s0, s0, s17
	s_mul_i32 s11, s11, s24
	s_mul_hi_u32 s17, s20, s11
	s_mul_i32 s21, s20, s11
	s_mul_i32 s26, s24, s0
	s_mul_hi_u32 s11, s24, s11
	s_mul_hi_u32 s25, s24, s0
	s_add_u32 s11, s11, s26
	s_addc_u32 s25, 0, s25
	s_add_u32 s11, s11, s21
	s_mul_hi_u32 s1, s20, s0
	s_addc_u32 s11, s25, s17
	s_addc_u32 s1, s1, 0
	s_mul_i32 s0, s20, s0
	s_add_u32 s0, s11, s0
	s_addc_u32 s11, 0, s1
	s_add_u32 s17, s24, s0
	s_cselect_b64 s[0:1], -1, 0
	s_cmp_lg_u64 s[0:1], 0
	s_addc_u32 s11, s20, s11
	v_mad_u64_u32 v[9:10], s[0:1], v18, s11, 0
	v_mul_hi_u32 v6, v18, s17
	v_mad_u64_u32 v[11:12], s[0:1], v2, s11, 0
	v_add_co_u32_e32 v6, vcc, v6, v9
	v_addc_co_u32_e32 v19, vcc, 0, v10, vcc
	v_mad_u64_u32 v[9:10], s[0:1], v2, s17, 0
	v_add_co_u32_e32 v6, vcc, v6, v9
	v_addc_co_u32_e32 v6, vcc, v19, v10, vcc
	v_addc_co_u32_e32 v9, vcc, 0, v12, vcc
	v_add_co_u32_e32 v12, vcc, v6, v11
	v_addc_co_u32_e32 v19, vcc, 0, v9, vcc
	v_mad_u64_u32 v[9:10], s[0:1], s22, v12, 0
	v_mov_b32_e32 v6, v10
	v_mad_u64_u32 v[10:11], s[0:1], s22, v19, v[6:7]
	v_sub_co_u32_e32 v6, vcc, v18, v9
	v_subb_co_u32_e32 v9, vcc, v2, v10, vcc
	v_subrev_co_u32_e32 v10, vcc, s22, v6
	v_subbrev_co_u32_e32 v11, vcc, 0, v9, vcc
	v_cmp_le_u32_e32 vcc, s22, v10
	v_cndmask_b32_e64 v10, 0, -1, vcc
	v_cmp_eq_u32_e32 vcc, 0, v11
	v_cndmask_b32_e32 v10, -1, v10, vcc
	v_add_co_u32_e32 v11, vcc, 2, v12
	v_addc_co_u32_e32 v20, vcc, 0, v19, vcc
	v_add_co_u32_e32 v21, vcc, 1, v12
	v_cmp_le_u32_e64 s[0:1], s22, v6
	v_addc_co_u32_e32 v22, vcc, 0, v19, vcc
	v_cndmask_b32_e64 v6, 0, -1, s[0:1]
	v_cmp_eq_u32_e64 s[0:1], 0, v9
	v_cmp_ne_u32_e32 vcc, 0, v10
	v_cndmask_b32_e64 v6, -1, v6, s[0:1]
	v_cndmask_b32_e32 v10, v22, v20, vcc
	v_cmp_ne_u32_e64 s[0:1], 0, v6
	v_cndmask_b32_e32 v6, v21, v11, vcc
	v_cndmask_b32_e64 v10, v19, v10, s[0:1]
	v_cndmask_b32_e64 v9, v12, v6, s[0:1]
.LBB23_9:                               ;   in Loop: Header=BB23_3 Depth=1
	s_andn2_saveexec_b64 s[0:1], s[18:19]
	s_cbranch_execz .LBB23_11
; %bb.10:                               ;   in Loop: Header=BB23_3 Depth=1
	s_sub_i32 s11, 0, s22
	v_mul_lo_u32 v6, s11, v15
	v_mul_hi_u32 v6, v15, v6
	v_add_u32_e32 v6, v15, v6
	v_mul_hi_u32 v6, v18, v6
	v_mul_lo_u32 v9, v6, s22
	v_add_u32_e32 v10, 1, v6
	v_sub_u32_e32 v9, v18, v9
	v_subrev_u32_e32 v11, s22, v9
	v_cmp_le_u32_e32 vcc, s22, v9
	v_cndmask_b32_e32 v9, v9, v11, vcc
	v_cndmask_b32_e32 v6, v6, v10, vcc
	v_add_u32_e32 v10, 1, v6
	v_cmp_le_u32_e32 vcc, s22, v9
	v_cndmask_b32_e32 v9, v6, v10, vcc
	v_mov_b32_e32 v10, v1
.LBB23_11:                              ;   in Loop: Header=BB23_3 Depth=1
	s_or_b64 exec, exec, s[0:1]
	s_ashr_i32 s11, s10, 31
	s_lshl_b64 s[18:19], s[10:11], 6
	s_mov_b32 s17, s19
	s_cmp_lg_u64 s[16:17], 0
	s_cbranch_scc0 .LBB23_34
; %bb.12:                               ;   in Loop: Header=BB23_3 Depth=1
	s_sub_u32 s11, 0, s22
	v_readfirstlane_b32 s0, v14
	v_readfirstlane_b32 s21, v13
	s_subb_u32 s17, 0, 0
	s_mul_hi_u32 s20, s11, s0
	s_mul_i32 s24, s11, s21
	s_mul_i32 s1, s17, s0
	s_add_i32 s20, s20, s24
	s_add_i32 s20, s20, s1
	s_mul_i32 s25, s11, s0
	s_mul_i32 s24, s0, s20
	s_mul_hi_u32 s26, s0, s25
	s_mul_hi_u32 s1, s0, s20
	s_add_u32 s24, s26, s24
	s_addc_u32 s1, 0, s1
	s_mul_hi_u32 s27, s21, s25
	s_mul_i32 s25, s21, s25
	s_add_u32 s24, s24, s25
	s_mul_hi_u32 s26, s21, s20
	s_addc_u32 s1, s1, s27
	s_addc_u32 s24, s26, 0
	s_mul_i32 s20, s21, s20
	s_add_u32 s1, s1, s20
	s_addc_u32 s20, 0, s24
	s_add_u32 s24, s0, s1
	s_cselect_b64 s[0:1], -1, 0
	s_cmp_lg_u64 s[0:1], 0
	s_addc_u32 s20, s21, s20
	s_mul_i32 s0, s11, s20
	s_mul_hi_u32 s1, s11, s24
	s_add_i32 s0, s1, s0
	s_mul_i32 s17, s17, s24
	s_add_i32 s0, s0, s17
	s_mul_i32 s11, s11, s24
	s_mul_hi_u32 s17, s20, s11
	s_mul_i32 s21, s20, s11
	s_mul_i32 s26, s24, s0
	s_mul_hi_u32 s11, s24, s11
	s_mul_hi_u32 s25, s24, s0
	s_add_u32 s11, s11, s26
	s_addc_u32 s25, 0, s25
	s_add_u32 s11, s11, s21
	s_mul_hi_u32 s1, s20, s0
	s_addc_u32 s11, s25, s17
	s_addc_u32 s1, s1, 0
	s_mul_i32 s0, s20, s0
	s_add_u32 s0, s11, s0
	s_addc_u32 s11, 0, s1
	s_add_u32 s17, s24, s0
	s_cselect_b64 s[0:1], -1, 0
	s_cmp_lg_u64 s[0:1], 0
	s_addc_u32 s0, s20, s11
	s_mul_i32 s11, s18, s0
	s_mul_hi_u32 s20, s18, s17
	s_mul_hi_u32 s1, s18, s0
	s_add_u32 s11, s20, s11
	s_addc_u32 s1, 0, s1
	s_mul_hi_u32 s21, s19, s17
	s_mul_i32 s17, s19, s17
	s_add_u32 s11, s11, s17
	s_mul_hi_u32 s20, s19, s0
	s_addc_u32 s1, s1, s21
	s_addc_u32 s11, s20, 0
	s_mul_i32 s0, s19, s0
	s_add_u32 s17, s1, s0
	s_addc_u32 s11, 0, s11
	s_add_u32 s20, s17, 1
	s_addc_u32 s21, s11, 0
	s_add_u32 s24, s17, 2
	s_mul_i32 s0, s22, s11
	s_mul_hi_u32 s1, s22, s17
	s_addc_u32 s25, s11, 0
	s_add_i32 s26, s1, s0
	s_mul_i32 s0, s22, s17
	s_sub_u32 s27, s18, s0
	s_cselect_b64 s[0:1], -1, 0
	s_cmp_lg_u64 s[0:1], 0
	s_subb_u32 s19, s19, s26
	s_sub_u32 s26, s27, s22
	s_cselect_b64 s[0:1], -1, 0
	s_cmp_lg_u64 s[0:1], 0
	s_subb_u32 s0, s19, 0
	s_cmp_ge_u32 s26, s22
	s_cselect_b32 s1, -1, 0
	s_cmp_eq_u32 s0, 0
	s_cselect_b32 s0, s1, -1
	s_cmp_lg_u32 s0, 0
	s_cselect_b32 s0, s24, s20
	s_cselect_b32 s1, s25, s21
	s_cmp_ge_u32 s27, s22
	s_cselect_b32 s20, -1, 0
	s_cmp_eq_u32 s19, 0
	s_cselect_b32 s19, s20, -1
	s_cmp_lg_u32 s19, 0
	s_cselect_b32 s1, s1, s11
	s_cselect_b32 s0, s0, s17
	s_cbranch_execnz .LBB23_14
.LBB23_13:                              ;   in Loop: Header=BB23_3 Depth=1
	s_sub_i32 s0, 0, s22
	v_readfirstlane_b32 s1, v15
	s_mul_i32 s0, s0, s1
	s_mul_hi_u32 s0, s1, s0
	s_add_i32 s1, s1, s0
	s_mul_hi_u32 s0, s18, s1
	s_mul_i32 s11, s0, s22
	s_sub_i32 s11, s18, s11
	s_add_i32 s1, s0, 1
	s_sub_i32 s17, s11, s22
	s_cmp_ge_u32 s11, s22
	s_cselect_b32 s0, s1, s0
	s_cselect_b32 s11, s17, s11
	s_add_i32 s1, s0, 1
	s_cmp_ge_u32 s11, s22
	s_cselect_b32 s0, s1, s0
	s_mov_b32 s1, s16
.LBB23_14:                              ;   in Loop: Header=BB23_3 Depth=1
	s_addk_i32 s10, 0x100
	s_ashr_i32 s11, s10, 31
	s_lshl_b64 s[10:11], s[10:11], 6
	s_mov_b32 s17, s11
	s_cmp_lg_u64 s[16:17], 0
	s_cbranch_scc0 .LBB23_35
; %bb.15:                               ;   in Loop: Header=BB23_3 Depth=1
	s_sub_u32 s17, 0, s22
	v_readfirstlane_b32 s18, v14
	v_readfirstlane_b32 s24, v13
	s_subb_u32 s20, 0, 0
	s_mul_hi_u32 s21, s17, s18
	s_mul_i32 s25, s17, s24
	s_mul_i32 s19, s20, s18
	s_add_i32 s21, s21, s25
	s_add_i32 s21, s21, s19
	s_mul_i32 s26, s17, s18
	s_mul_i32 s25, s18, s21
	s_mul_hi_u32 s27, s18, s26
	s_mul_hi_u32 s19, s18, s21
	s_add_u32 s25, s27, s25
	s_addc_u32 s19, 0, s19
	s_mul_hi_u32 s28, s24, s26
	s_mul_i32 s26, s24, s26
	s_add_u32 s25, s25, s26
	s_mul_hi_u32 s27, s24, s21
	s_addc_u32 s19, s19, s28
	s_addc_u32 s25, s27, 0
	s_mul_i32 s21, s24, s21
	s_add_u32 s19, s19, s21
	s_addc_u32 s21, 0, s25
	s_add_u32 s25, s18, s19
	s_cselect_b64 s[18:19], -1, 0
	s_cmp_lg_u64 s[18:19], 0
	s_addc_u32 s21, s24, s21
	s_mul_i32 s18, s17, s21
	s_mul_hi_u32 s19, s17, s25
	s_add_i32 s18, s19, s18
	s_mul_i32 s20, s20, s25
	s_add_i32 s18, s18, s20
	s_mul_i32 s17, s17, s25
	s_mul_hi_u32 s20, s21, s17
	s_mul_i32 s24, s21, s17
	s_mul_i32 s27, s25, s18
	s_mul_hi_u32 s17, s25, s17
	s_mul_hi_u32 s26, s25, s18
	s_add_u32 s17, s17, s27
	s_addc_u32 s26, 0, s26
	s_add_u32 s17, s17, s24
	s_mul_hi_u32 s19, s21, s18
	s_addc_u32 s17, s26, s20
	s_addc_u32 s19, s19, 0
	s_mul_i32 s18, s21, s18
	s_add_u32 s17, s17, s18
	s_addc_u32 s20, 0, s19
	s_add_u32 s17, s25, s17
	s_cselect_b64 s[18:19], -1, 0
	s_cmp_lg_u64 s[18:19], 0
	s_addc_u32 s18, s21, s20
	s_mul_i32 s20, s10, s18
	s_mul_hi_u32 s21, s10, s17
	s_mul_hi_u32 s19, s10, s18
	s_add_u32 s20, s21, s20
	s_addc_u32 s19, 0, s19
	s_mul_hi_u32 s24, s11, s17
	s_mul_i32 s17, s11, s17
	s_add_u32 s17, s20, s17
	s_mul_hi_u32 s21, s11, s18
	s_addc_u32 s17, s19, s24
	s_addc_u32 s19, s21, 0
	s_mul_i32 s18, s11, s18
	s_add_u32 s17, s17, s18
	s_addc_u32 s20, 0, s19
	s_add_u32 s21, s17, 1
	s_addc_u32 s24, s20, 0
	s_add_u32 s25, s17, 2
	s_mul_i32 s18, s22, s20
	s_mul_hi_u32 s19, s22, s17
	s_addc_u32 s26, s20, 0
	s_add_i32 s27, s19, s18
	s_mul_i32 s18, s22, s17
	s_sub_u32 s28, s10, s18
	s_cselect_b64 s[18:19], -1, 0
	s_cmp_lg_u64 s[18:19], 0
	s_subb_u32 s27, s11, s27
	s_sub_u32 s29, s28, s22
	s_cselect_b64 s[18:19], -1, 0
	s_cmp_lg_u64 s[18:19], 0
	s_subb_u32 s18, s27, 0
	s_cmp_ge_u32 s29, s22
	s_cselect_b32 s19, -1, 0
	s_cmp_eq_u32 s18, 0
	s_cselect_b32 s18, s19, -1
	s_cmp_lg_u32 s18, 0
	s_cselect_b32 s18, s25, s21
	s_cselect_b32 s19, s26, s24
	s_cmp_ge_u32 s28, s22
	s_cselect_b32 s21, -1, 0
	s_cmp_eq_u32 s27, 0
	s_cselect_b32 s21, s21, -1
	s_cmp_lg_u32 s21, 0
	s_cselect_b32 s19, s19, s20
	s_cselect_b32 s18, s18, s17
	s_cbranch_execnz .LBB23_17
.LBB23_16:                              ;   in Loop: Header=BB23_3 Depth=1
	s_sub_i32 s17, 0, s22
	v_readfirstlane_b32 s18, v15
	s_mul_i32 s17, s17, s18
	s_mul_hi_u32 s17, s18, s17
	s_add_i32 s18, s18, s17
	s_mul_hi_u32 s17, s10, s18
	s_mul_i32 s19, s17, s22
	s_sub_i32 s19, s10, s19
	s_add_i32 s18, s17, 1
	s_sub_i32 s20, s19, s22
	s_cmp_ge_u32 s19, s22
	s_cselect_b32 s17, s18, s17
	s_cselect_b32 s19, s20, s19
	s_add_i32 s18, s17, 1
	s_cmp_ge_u32 s19, s22
	s_cselect_b32 s18, s18, s17
	s_mov_b32 s19, s16
.LBB23_17:                              ;   in Loop: Header=BB23_3 Depth=1
	s_and_b32 s17, s0, 0xffffff00
	v_mov_b32_e32 v11, s17
	v_mov_b32_e32 v12, s1
	v_cmp_lt_u64_e32 vcc, s[4:5], v[11:12]
	v_mov_b32_e32 v12, s19
	s_and_b64 s[0:1], vcc, exec
	s_mul_i32 s0, s19, s22
	s_mul_hi_u32 s1, s18, s22
	s_cselect_b32 s17, s4, s17
	s_add_i32 s1, s1, s0
	s_mul_i32 s0, s18, s22
	s_sub_u32 s0, s10, s0
	s_subb_u32 s1, s11, s1
	s_cmp_lg_u64 s[0:1], 0
	s_cselect_b64 s[0:1], -1, 0
	v_cndmask_b32_e64 v11, 0, 1, s[0:1]
	v_add_co_u32_e32 v19, vcc, s18, v11
	v_addc_co_u32_e32 v20, vcc, 0, v12, vcc
	v_and_b32_e32 v11, 0xff, v19
	v_mov_b32_e32 v12, v1
	v_cmp_eq_u64_e32 vcc, 0, v[11:12]
	v_mov_b32_e32 v6, s4
	v_cndmask_b32_e64 v11, v17, 0, vcc
	v_add_co_u32_e32 v11, vcc, v11, v19
	v_addc_co_u32_e32 v12, vcc, 0, v20, vcc
	v_and_b32_e32 v11, 0xffffff00, v11
	v_cmp_lt_u64_e32 vcc, s[4:5], v[11:12]
	v_cmp_lt_u64_e64 s[0:1], s[4:5], v[7:8]
	v_cndmask_b32_e32 v19, v11, v6, vcc
	v_mov_b32_e32 v11, 0
	v_cmp_ge_i32_e32 vcc, s17, v19
	v_mov_b32_e32 v12, 0
	v_cndmask_b32_e64 v6, v7, v6, s[0:1]
	s_cbranch_vccnz .LBB23_32
; %bb.18:                               ;   in Loop: Header=BB23_3 Depth=1
	v_mad_u64_u32 v[7:8], s[0:1], v9, s22, 0
	v_mov_b32_e32 v11, 0
	v_mov_b32_e32 v12, 0
	v_mad_u64_u32 v[20:21], s[0:1], v10, s22, v[8:9]
	v_sub_co_u32_e32 v7, vcc, v18, v7
	v_subb_co_u32_e32 v8, vcc, v2, v20, vcc
	v_cmp_ne_u64_e32 vcc, 0, v[7:8]
	v_cndmask_b32_e64 v2, 0, 1, vcc
	v_add_co_u32_e32 v7, vcc, v9, v2
	v_addc_co_u32_e32 v8, vcc, 0, v10, vcc
	v_cmp_lt_u64_e32 vcc, s[4:5], v[7:8]
	v_mov_b32_e32 v2, s4
	v_cndmask_b32_e32 v2, v7, v2, vcc
.LBB23_19:                              ;   Parent Loop BB23_3 Depth=1
                                        ; =>  This Loop Header: Depth=2
                                        ;       Child Loop BB23_24 Depth 3
	v_add_u32_e32 v7, s17, v0
	v_ashrrev_i32_e32 v8, 31, v7
	v_cmp_gt_u64_e32 vcc, s[2:3], v[7:8]
	s_waitcnt vmcnt(0) lgkmcnt(0)
	s_barrier
	s_and_saveexec_b64 s[0:1], vcc
	s_cbranch_execz .LBB23_21
; %bb.20:                               ;   in Loop: Header=BB23_19 Depth=2
	v_lshlrev_b64 v[7:8], 3, v[7:8]
	v_mov_b32_e32 v9, s15
	v_add_co_u32_e32 v7, vcc, s14, v7
	v_addc_co_u32_e32 v8, vcc, v9, v8, vcc
	global_load_dwordx2 v[7:8], v[7:8], off
	v_mov_b32_e32 v9, s9
	s_waitcnt vmcnt(0)
	v_subrev_co_u32_e32 v7, vcc, s8, v7
	v_subb_co_u32_e32 v8, vcc, v8, v9, vcc
	ds_write_b64 v16, v[7:8]
.LBB23_21:                              ;   in Loop: Header=BB23_19 Depth=2
	s_or_b64 exec, exec, s[0:1]
	s_add_i32 s20, s17, 0x100
	v_max_i32_e32 v18, s17, v6
	v_min_i32_e32 v20, s20, v2
	v_cmp_lt_i32_e32 vcc, v18, v20
	s_waitcnt lgkmcnt(0)
	s_barrier
	s_and_saveexec_b64 s[0:1], vcc
	s_cbranch_execz .LBB23_29
; %bb.22:                               ;   in Loop: Header=BB23_19 Depth=2
	s_mov_b64 s[10:11], 0
	s_branch .LBB23_24
.LBB23_23:                              ;   in Loop: Header=BB23_24 Depth=3
	s_or_b64 exec, exec, s[18:19]
	v_add_u32_e32 v18, 1, v18
	v_cmp_ge_i32_e32 vcc, v18, v20
	v_or_b32_e32 v12, v8, v12
	s_or_b64 s[10:11], vcc, s[10:11]
	v_or_b32_e32 v11, v7, v11
	s_andn2_b64 exec, exec, s[10:11]
	s_cbranch_execz .LBB23_28
.LBB23_24:                              ;   Parent Loop BB23_3 Depth=1
                                        ;     Parent Loop BB23_19 Depth=2
                                        ; =>    This Inner Loop Header: Depth=3
	v_subrev_u32_e32 v7, s17, v18
	v_lshlrev_b32_e32 v7, 3, v7
	v_mul_lo_u32 v8, v18, s22
	s_waitcnt lgkmcnt(0)
	ds_read_b64 v[9:10], v7
	v_sub_u32_e32 v21, v8, v5
	v_cmp_gt_i32_e32 vcc, 1, v21
                                        ; implicit-def: $vgpr7_vgpr8
	s_and_saveexec_b64 s[18:19], vcc
	s_xor_b64 s[18:19], exec, s[18:19]
	s_cbranch_execz .LBB23_26
; %bb.25:                               ;   in Loop: Header=BB23_24 Depth=3
	v_sub_u32_e32 v7, 0, v21
	s_waitcnt lgkmcnt(0)
	v_lshrrev_b64 v[7:8], v7, v[9:10]
                                        ; implicit-def: $vgpr21
                                        ; implicit-def: $vgpr9_vgpr10
.LBB23_26:                              ;   in Loop: Header=BB23_24 Depth=3
	s_andn2_saveexec_b64 s[18:19], s[18:19]
	s_cbranch_execz .LBB23_23
; %bb.27:                               ;   in Loop: Header=BB23_24 Depth=3
	s_waitcnt lgkmcnt(0)
	v_lshlrev_b64 v[7:8], v21, v[9:10]
	s_branch .LBB23_23
.LBB23_28:                              ;   in Loop: Header=BB23_19 Depth=2
	s_or_b64 exec, exec, s[10:11]
.LBB23_29:                              ;   in Loop: Header=BB23_19 Depth=2
	s_or_b64 exec, exec, s[0:1]
; %bb.30:                               ;   in Loop: Header=BB23_19 Depth=2
	v_cmp_lt_i32_e32 vcc, s20, v19
	s_cbranch_vccz .LBB23_32
; %bb.31:                               ;   in Loop: Header=BB23_19 Depth=2
	s_mov_b32 s17, s20
	s_branch .LBB23_19
.LBB23_32:                              ;   in Loop: Header=BB23_3 Depth=1
	v_ashrrev_i32_e32 v7, 31, v6
	v_cmp_gt_u64_e32 vcc, s[2:3], v[6:7]
	s_and_saveexec_b64 s[0:1], vcc
	s_cbranch_execz .LBB23_2
; %bb.33:                               ;   in Loop: Header=BB23_3 Depth=1
	v_lshlrev_b64 v[2:3], 3, v[3:4]
	v_mov_b32_e32 v4, s13
	v_add_co_u32_e32 v2, vcc, s12, v2
	v_addc_co_u32_e32 v3, vcc, v4, v3, vcc
	global_store_dwordx2 v[2:3], v[11:12], off
	s_branch .LBB23_2
.LBB23_34:                              ;   in Loop: Header=BB23_3 Depth=1
                                        ; implicit-def: $sgpr0_sgpr1
	s_branch .LBB23_13
.LBB23_35:                              ;   in Loop: Header=BB23_3 Depth=1
                                        ; implicit-def: $sgpr18_sgpr19
	s_branch .LBB23_16
.LBB23_36:
	s_endpgm
	.section	.rodata,"a",@progbits
	.p2align	6, 0x0
	.amdhsa_kernel _Z13bitPackKernelIymEvPKhPKT_PT0_S4_PKm
		.amdhsa_group_segment_fixed_size 2048
		.amdhsa_private_segment_fixed_size 0
		.amdhsa_kernarg_size 296
		.amdhsa_user_sgpr_count 6
		.amdhsa_user_sgpr_private_segment_buffer 1
		.amdhsa_user_sgpr_dispatch_ptr 0
		.amdhsa_user_sgpr_queue_ptr 0
		.amdhsa_user_sgpr_kernarg_segment_ptr 1
		.amdhsa_user_sgpr_dispatch_id 0
		.amdhsa_user_sgpr_flat_scratch_init 0
		.amdhsa_user_sgpr_private_segment_size 0
		.amdhsa_uses_dynamic_stack 0
		.amdhsa_system_sgpr_private_segment_wavefront_offset 0
		.amdhsa_system_sgpr_workgroup_id_x 1
		.amdhsa_system_sgpr_workgroup_id_y 0
		.amdhsa_system_sgpr_workgroup_id_z 0
		.amdhsa_system_sgpr_workgroup_info 0
		.amdhsa_system_vgpr_workitem_id 0
		.amdhsa_next_free_vgpr 29
		.amdhsa_next_free_sgpr 61
		.amdhsa_reserve_vcc 1
		.amdhsa_reserve_flat_scratch 0
		.amdhsa_float_round_mode_32 0
		.amdhsa_float_round_mode_16_64 0
		.amdhsa_float_denorm_mode_32 3
		.amdhsa_float_denorm_mode_16_64 3
		.amdhsa_dx10_clamp 1
		.amdhsa_ieee_mode 1
		.amdhsa_fp16_overflow 0
		.amdhsa_exception_fp_ieee_invalid_op 0
		.amdhsa_exception_fp_denorm_src 0
		.amdhsa_exception_fp_ieee_div_zero 0
		.amdhsa_exception_fp_ieee_overflow 0
		.amdhsa_exception_fp_ieee_underflow 0
		.amdhsa_exception_fp_ieee_inexact 0
		.amdhsa_exception_int_div_zero 0
	.end_amdhsa_kernel
	.section	.text._Z13bitPackKernelIymEvPKhPKT_PT0_S4_PKm,"axG",@progbits,_Z13bitPackKernelIymEvPKhPKT_PT0_S4_PKm,comdat
.Lfunc_end23:
	.size	_Z13bitPackKernelIymEvPKhPKT_PT0_S4_PKm, .Lfunc_end23-_Z13bitPackKernelIymEvPKhPKT_PT0_S4_PKm
                                        ; -- End function
	.set _Z13bitPackKernelIymEvPKhPKT_PT0_S4_PKm.num_vgpr, 23
	.set _Z13bitPackKernelIymEvPKhPKT_PT0_S4_PKm.num_agpr, 0
	.set _Z13bitPackKernelIymEvPKhPKT_PT0_S4_PKm.numbered_sgpr, 30
	.set _Z13bitPackKernelIymEvPKhPKT_PT0_S4_PKm.num_named_barrier, 0
	.set _Z13bitPackKernelIymEvPKhPKT_PT0_S4_PKm.private_seg_size, 0
	.set _Z13bitPackKernelIymEvPKhPKT_PT0_S4_PKm.uses_vcc, 1
	.set _Z13bitPackKernelIymEvPKhPKT_PT0_S4_PKm.uses_flat_scratch, 0
	.set _Z13bitPackKernelIymEvPKhPKT_PT0_S4_PKm.has_dyn_sized_stack, 0
	.set _Z13bitPackKernelIymEvPKhPKT_PT0_S4_PKm.has_recursion, 0
	.set _Z13bitPackKernelIymEvPKhPKT_PT0_S4_PKm.has_indirect_call, 0
	.section	.AMDGPU.csdata,"",@progbits
; Kernel info:
; codeLenInByte = 2816
; TotalNumSgprs: 34
; NumVgprs: 23
; ScratchSize: 0
; MemoryBound: 0
; FloatMode: 240
; IeeeMode: 1
; LDSByteSize: 2048 bytes/workgroup (compile time only)
; SGPRBlocks: 8
; VGPRBlocks: 7
; NumSGPRsForWavesPerEU: 65
; NumVGPRsForWavesPerEU: 29
; Occupancy: 8
; WaveLimiterHint : 0
; COMPUTE_PGM_RSRC2:SCRATCH_EN: 0
; COMPUTE_PGM_RSRC2:USER_SGPR: 6
; COMPUTE_PGM_RSRC2:TRAP_HANDLER: 0
; COMPUTE_PGM_RSRC2:TGID_X_EN: 1
; COMPUTE_PGM_RSRC2:TGID_Y_EN: 0
; COMPUTE_PGM_RSRC2:TGID_Z_EN: 0
; COMPUTE_PGM_RSRC2:TIDIG_COMP_CNT: 0
	.section	.AMDGPU.gpr_maximums,"",@progbits
	.set amdgpu.max_num_vgpr, 0
	.set amdgpu.max_num_agpr, 0
	.set amdgpu.max_num_sgpr, 0
	.section	.AMDGPU.csdata,"",@progbits
	.type	__hip_cuid_870a327e284dd03e,@object ; @__hip_cuid_870a327e284dd03e
	.section	.bss,"aw",@nobits
	.globl	__hip_cuid_870a327e284dd03e
__hip_cuid_870a327e284dd03e:
	.byte	0                               ; 0x0
	.size	__hip_cuid_870a327e284dd03e, 1

	.ident	"AMD clang version 22.0.0git (https://github.com/RadeonOpenCompute/llvm-project roc-7.2.4 26084 f58b06dce1f9c15707c5f808fd002e18c2accf7e)"
	.section	".note.GNU-stack","",@progbits
	.addrsig
	.addrsig_sym __hip_cuid_870a327e284dd03e
	.amdgpu_metadata
---
amdhsa.kernels:
  - .args:
      - .address_space:  global
        .offset:         0
        .size:           8
        .value_kind:     global_buffer
      - .address_space:  global
        .offset:         8
        .size:           8
        .value_kind:     global_buffer
      - .address_space:  global
        .offset:         16
        .size:           8
        .value_kind:     global_buffer
      - .address_space:  global
        .offset:         24
        .size:           8
        .value_kind:     global_buffer
      - .offset:         32
        .size:           4
        .value_kind:     hidden_block_count_x
      - .offset:         36
        .size:           4
        .value_kind:     hidden_block_count_y
      - .offset:         40
        .size:           4
        .value_kind:     hidden_block_count_z
      - .offset:         44
        .size:           2
        .value_kind:     hidden_group_size_x
      - .offset:         46
        .size:           2
        .value_kind:     hidden_group_size_y
      - .offset:         48
        .size:           2
        .value_kind:     hidden_group_size_z
      - .offset:         50
        .size:           2
        .value_kind:     hidden_remainder_x
      - .offset:         52
        .size:           2
        .value_kind:     hidden_remainder_y
      - .offset:         54
        .size:           2
        .value_kind:     hidden_remainder_z
      - .offset:         72
        .size:           8
        .value_kind:     hidden_global_offset_x
      - .offset:         80
        .size:           8
        .value_kind:     hidden_global_offset_y
      - .offset:         88
        .size:           8
        .value_kind:     hidden_global_offset_z
      - .offset:         96
        .size:           2
        .value_kind:     hidden_grid_dims
    .group_segment_fixed_size: 512
    .kernarg_segment_align: 8
    .kernarg_segment_size: 288
    .language:       OpenCL C
    .language_version:
      - 2
      - 0
    .max_flat_workgroup_size: 1024
    .name:           _Z23bitPackConfigScanKernelIccEvPT_S1_PKT0_PKm
    .private_segment_fixed_size: 0
    .sgpr_count:     20
    .sgpr_spill_count: 0
    .symbol:         _Z23bitPackConfigScanKernelIccEvPT_S1_PKT0_PKm.kd
    .uniform_work_group_size: 1
    .uses_dynamic_stack: false
    .vgpr_count:     5
    .vgpr_spill_count: 0
    .wavefront_size: 64
  - .args:
      - .address_space:  global
        .offset:         0
        .size:           8
        .value_kind:     global_buffer
      - .address_space:  global
        .offset:         8
        .size:           8
        .value_kind:     global_buffer
      - .address_space:  global
        .offset:         16
        .size:           8
        .value_kind:     global_buffer
      - .address_space:  global
        .offset:         24
        .size:           8
        .value_kind:     global_buffer
      - .address_space:  global
        .offset:         32
        .size:           8
        .value_kind:     global_buffer
    .group_segment_fixed_size: 512
    .kernarg_segment_align: 8
    .kernarg_segment_size: 40
    .language:       OpenCL C
    .language_version:
      - 2
      - 0
    .max_flat_workgroup_size: 1024
    .name:           _Z27bitPackConfigFinalizeKernelIccEvPKT_S2_PhPT0_PKm
    .private_segment_fixed_size: 0
    .sgpr_count:     20
    .sgpr_spill_count: 0
    .symbol:         _Z27bitPackConfigFinalizeKernelIccEvPKT_S2_PhPT0_PKm.kd
    .uniform_work_group_size: 1
    .uses_dynamic_stack: false
    .vgpr_count:     16
    .vgpr_spill_count: 0
    .wavefront_size: 64
  - .args:
      - .address_space:  global
        .offset:         0
        .size:           8
        .value_kind:     global_buffer
      - .address_space:  global
        .offset:         8
        .size:           8
        .value_kind:     global_buffer
      - .address_space:  global
        .offset:         16
        .size:           8
        .value_kind:     global_buffer
      - .address_space:  global
        .offset:         24
        .size:           8
        .value_kind:     global_buffer
      - .address_space:  global
        .offset:         32
        .size:           8
        .value_kind:     global_buffer
      - .offset:         40
        .size:           4
        .value_kind:     hidden_block_count_x
      - .offset:         44
        .size:           4
        .value_kind:     hidden_block_count_y
      - .offset:         48
        .size:           4
        .value_kind:     hidden_block_count_z
      - .offset:         52
        .size:           2
        .value_kind:     hidden_group_size_x
      - .offset:         54
        .size:           2
        .value_kind:     hidden_group_size_y
      - .offset:         56
        .size:           2
        .value_kind:     hidden_group_size_z
      - .offset:         58
        .size:           2
        .value_kind:     hidden_remainder_x
      - .offset:         60
        .size:           2
        .value_kind:     hidden_remainder_y
      - .offset:         62
        .size:           2
        .value_kind:     hidden_remainder_z
      - .offset:         80
        .size:           8
        .value_kind:     hidden_global_offset_x
      - .offset:         88
        .size:           8
        .value_kind:     hidden_global_offset_y
      - .offset:         96
        .size:           8
        .value_kind:     hidden_global_offset_z
      - .offset:         104
        .size:           2
        .value_kind:     hidden_grid_dims
    .group_segment_fixed_size: 256
    .kernarg_segment_align: 8
    .kernarg_segment_size: 296
    .language:       OpenCL C
    .language_version:
      - 2
      - 0
    .max_flat_workgroup_size: 1024
    .name:           _Z13bitPackKernelIcjEvPKhPKT_PT0_S4_PKm
    .private_segment_fixed_size: 0
    .sgpr_count:     33
    .sgpr_spill_count: 0
    .symbol:         _Z13bitPackKernelIcjEvPKhPKT_PT0_S4_PKm.kd
    .uniform_work_group_size: 1
    .uses_dynamic_stack: false
    .vgpr_count:     24
    .vgpr_spill_count: 0
    .wavefront_size: 64
  - .args:
      - .address_space:  global
        .offset:         0
        .size:           8
        .value_kind:     global_buffer
      - .address_space:  global
        .offset:         8
        .size:           8
        .value_kind:     global_buffer
      - .address_space:  global
        .offset:         16
        .size:           8
        .value_kind:     global_buffer
      - .address_space:  global
        .offset:         24
        .size:           8
        .value_kind:     global_buffer
      - .offset:         32
        .size:           4
        .value_kind:     hidden_block_count_x
      - .offset:         36
        .size:           4
        .value_kind:     hidden_block_count_y
      - .offset:         40
        .size:           4
        .value_kind:     hidden_block_count_z
      - .offset:         44
        .size:           2
        .value_kind:     hidden_group_size_x
      - .offset:         46
        .size:           2
        .value_kind:     hidden_group_size_y
      - .offset:         48
        .size:           2
        .value_kind:     hidden_group_size_z
      - .offset:         50
        .size:           2
        .value_kind:     hidden_remainder_x
      - .offset:         52
        .size:           2
        .value_kind:     hidden_remainder_y
      - .offset:         54
        .size:           2
        .value_kind:     hidden_remainder_z
      - .offset:         72
        .size:           8
        .value_kind:     hidden_global_offset_x
      - .offset:         80
        .size:           8
        .value_kind:     hidden_global_offset_y
      - .offset:         88
        .size:           8
        .value_kind:     hidden_global_offset_z
      - .offset:         96
        .size:           2
        .value_kind:     hidden_grid_dims
    .group_segment_fixed_size: 512
    .kernarg_segment_align: 8
    .kernarg_segment_size: 288
    .language:       OpenCL C
    .language_version:
      - 2
      - 0
    .max_flat_workgroup_size: 1024
    .name:           _Z23bitPackConfigScanKernelIhhEvPT_S1_PKT0_PKm
    .private_segment_fixed_size: 0
    .sgpr_count:     20
    .sgpr_spill_count: 0
    .symbol:         _Z23bitPackConfigScanKernelIhhEvPT_S1_PKT0_PKm.kd
    .uniform_work_group_size: 1
    .uses_dynamic_stack: false
    .vgpr_count:     5
    .vgpr_spill_count: 0
    .wavefront_size: 64
  - .args:
      - .address_space:  global
        .offset:         0
        .size:           8
        .value_kind:     global_buffer
      - .address_space:  global
        .offset:         8
        .size:           8
        .value_kind:     global_buffer
      - .address_space:  global
        .offset:         16
        .size:           8
        .value_kind:     global_buffer
      - .address_space:  global
        .offset:         24
        .size:           8
        .value_kind:     global_buffer
      - .address_space:  global
        .offset:         32
        .size:           8
        .value_kind:     global_buffer
    .group_segment_fixed_size: 512
    .kernarg_segment_align: 8
    .kernarg_segment_size: 40
    .language:       OpenCL C
    .language_version:
      - 2
      - 0
    .max_flat_workgroup_size: 1024
    .name:           _Z27bitPackConfigFinalizeKernelIhhEvPKT_S2_PhPT0_PKm
    .private_segment_fixed_size: 0
    .sgpr_count:     20
    .sgpr_spill_count: 0
    .symbol:         _Z27bitPackConfigFinalizeKernelIhhEvPKT_S2_PhPT0_PKm.kd
    .uniform_work_group_size: 1
    .uses_dynamic_stack: false
    .vgpr_count:     16
    .vgpr_spill_count: 0
    .wavefront_size: 64
  - .args:
      - .address_space:  global
        .offset:         0
        .size:           8
        .value_kind:     global_buffer
      - .address_space:  global
        .offset:         8
        .size:           8
        .value_kind:     global_buffer
      - .address_space:  global
        .offset:         16
        .size:           8
        .value_kind:     global_buffer
      - .address_space:  global
        .offset:         24
        .size:           8
        .value_kind:     global_buffer
      - .address_space:  global
        .offset:         32
        .size:           8
        .value_kind:     global_buffer
      - .offset:         40
        .size:           4
        .value_kind:     hidden_block_count_x
      - .offset:         44
        .size:           4
        .value_kind:     hidden_block_count_y
      - .offset:         48
        .size:           4
        .value_kind:     hidden_block_count_z
      - .offset:         52
        .size:           2
        .value_kind:     hidden_group_size_x
      - .offset:         54
        .size:           2
        .value_kind:     hidden_group_size_y
      - .offset:         56
        .size:           2
        .value_kind:     hidden_group_size_z
      - .offset:         58
        .size:           2
        .value_kind:     hidden_remainder_x
      - .offset:         60
        .size:           2
        .value_kind:     hidden_remainder_y
      - .offset:         62
        .size:           2
        .value_kind:     hidden_remainder_z
      - .offset:         80
        .size:           8
        .value_kind:     hidden_global_offset_x
      - .offset:         88
        .size:           8
        .value_kind:     hidden_global_offset_y
      - .offset:         96
        .size:           8
        .value_kind:     hidden_global_offset_z
      - .offset:         104
        .size:           2
        .value_kind:     hidden_grid_dims
    .group_segment_fixed_size: 256
    .kernarg_segment_align: 8
    .kernarg_segment_size: 296
    .language:       OpenCL C
    .language_version:
      - 2
      - 0
    .max_flat_workgroup_size: 1024
    .name:           _Z13bitPackKernelIhjEvPKhPKT_PT0_S4_PKm
    .private_segment_fixed_size: 0
    .sgpr_count:     33
    .sgpr_spill_count: 0
    .symbol:         _Z13bitPackKernelIhjEvPKhPKT_PT0_S4_PKm.kd
    .uniform_work_group_size: 1
    .uses_dynamic_stack: false
    .vgpr_count:     24
    .vgpr_spill_count: 0
    .wavefront_size: 64
  - .args:
      - .address_space:  global
        .offset:         0
        .size:           8
        .value_kind:     global_buffer
      - .address_space:  global
        .offset:         8
        .size:           8
        .value_kind:     global_buffer
      - .address_space:  global
        .offset:         16
        .size:           8
        .value_kind:     global_buffer
      - .address_space:  global
        .offset:         24
        .size:           8
        .value_kind:     global_buffer
      - .offset:         32
        .size:           4
        .value_kind:     hidden_block_count_x
      - .offset:         36
        .size:           4
        .value_kind:     hidden_block_count_y
      - .offset:         40
        .size:           4
        .value_kind:     hidden_block_count_z
      - .offset:         44
        .size:           2
        .value_kind:     hidden_group_size_x
      - .offset:         46
        .size:           2
        .value_kind:     hidden_group_size_y
      - .offset:         48
        .size:           2
        .value_kind:     hidden_group_size_z
      - .offset:         50
        .size:           2
        .value_kind:     hidden_remainder_x
      - .offset:         52
        .size:           2
        .value_kind:     hidden_remainder_y
      - .offset:         54
        .size:           2
        .value_kind:     hidden_remainder_z
      - .offset:         72
        .size:           8
        .value_kind:     hidden_global_offset_x
      - .offset:         80
        .size:           8
        .value_kind:     hidden_global_offset_y
      - .offset:         88
        .size:           8
        .value_kind:     hidden_global_offset_z
      - .offset:         96
        .size:           2
        .value_kind:     hidden_grid_dims
    .group_segment_fixed_size: 1024
    .kernarg_segment_align: 8
    .kernarg_segment_size: 288
    .language:       OpenCL C
    .language_version:
      - 2
      - 0
    .max_flat_workgroup_size: 1024
    .name:           _Z23bitPackConfigScanKernelIssEvPT_S1_PKT0_PKm
    .private_segment_fixed_size: 0
    .sgpr_count:     20
    .sgpr_spill_count: 0
    .symbol:         _Z23bitPackConfigScanKernelIssEvPT_S1_PKT0_PKm.kd
    .uniform_work_group_size: 1
    .uses_dynamic_stack: false
    .vgpr_count:     8
    .vgpr_spill_count: 0
    .wavefront_size: 64
  - .args:
      - .address_space:  global
        .offset:         0
        .size:           8
        .value_kind:     global_buffer
      - .address_space:  global
        .offset:         8
        .size:           8
        .value_kind:     global_buffer
      - .address_space:  global
        .offset:         16
        .size:           8
        .value_kind:     global_buffer
      - .address_space:  global
        .offset:         24
        .size:           8
        .value_kind:     global_buffer
      - .address_space:  global
        .offset:         32
        .size:           8
        .value_kind:     global_buffer
    .group_segment_fixed_size: 1024
    .kernarg_segment_align: 8
    .kernarg_segment_size: 40
    .language:       OpenCL C
    .language_version:
      - 2
      - 0
    .max_flat_workgroup_size: 1024
    .name:           _Z27bitPackConfigFinalizeKernelIssEvPKT_S2_PhPT0_PKm
    .private_segment_fixed_size: 0
    .sgpr_count:     20
    .sgpr_spill_count: 0
    .symbol:         _Z27bitPackConfigFinalizeKernelIssEvPKT_S2_PhPT0_PKm.kd
    .uniform_work_group_size: 1
    .uses_dynamic_stack: false
    .vgpr_count:     15
    .vgpr_spill_count: 0
    .wavefront_size: 64
  - .args:
      - .address_space:  global
        .offset:         0
        .size:           8
        .value_kind:     global_buffer
      - .address_space:  global
        .offset:         8
        .size:           8
        .value_kind:     global_buffer
      - .address_space:  global
        .offset:         16
        .size:           8
        .value_kind:     global_buffer
      - .address_space:  global
        .offset:         24
        .size:           8
        .value_kind:     global_buffer
      - .address_space:  global
        .offset:         32
        .size:           8
        .value_kind:     global_buffer
      - .offset:         40
        .size:           4
        .value_kind:     hidden_block_count_x
      - .offset:         44
        .size:           4
        .value_kind:     hidden_block_count_y
      - .offset:         48
        .size:           4
        .value_kind:     hidden_block_count_z
      - .offset:         52
        .size:           2
        .value_kind:     hidden_group_size_x
      - .offset:         54
        .size:           2
        .value_kind:     hidden_group_size_y
      - .offset:         56
        .size:           2
        .value_kind:     hidden_group_size_z
      - .offset:         58
        .size:           2
        .value_kind:     hidden_remainder_x
      - .offset:         60
        .size:           2
        .value_kind:     hidden_remainder_y
      - .offset:         62
        .size:           2
        .value_kind:     hidden_remainder_z
      - .offset:         80
        .size:           8
        .value_kind:     hidden_global_offset_x
      - .offset:         88
        .size:           8
        .value_kind:     hidden_global_offset_y
      - .offset:         96
        .size:           8
        .value_kind:     hidden_global_offset_z
      - .offset:         104
        .size:           2
        .value_kind:     hidden_grid_dims
    .group_segment_fixed_size: 512
    .kernarg_segment_align: 8
    .kernarg_segment_size: 296
    .language:       OpenCL C
    .language_version:
      - 2
      - 0
    .max_flat_workgroup_size: 1024
    .name:           _Z13bitPackKernelIsjEvPKhPKT_PT0_S4_PKm
    .private_segment_fixed_size: 0
    .sgpr_count:     33
    .sgpr_spill_count: 0
    .symbol:         _Z13bitPackKernelIsjEvPKhPKT_PT0_S4_PKm.kd
    .uniform_work_group_size: 1
    .uses_dynamic_stack: false
    .vgpr_count:     24
    .vgpr_spill_count: 0
    .wavefront_size: 64
  - .args:
      - .address_space:  global
        .offset:         0
        .size:           8
        .value_kind:     global_buffer
      - .address_space:  global
        .offset:         8
        .size:           8
        .value_kind:     global_buffer
      - .address_space:  global
        .offset:         16
        .size:           8
        .value_kind:     global_buffer
      - .address_space:  global
        .offset:         24
        .size:           8
        .value_kind:     global_buffer
      - .offset:         32
        .size:           4
        .value_kind:     hidden_block_count_x
      - .offset:         36
        .size:           4
        .value_kind:     hidden_block_count_y
      - .offset:         40
        .size:           4
        .value_kind:     hidden_block_count_z
      - .offset:         44
        .size:           2
        .value_kind:     hidden_group_size_x
      - .offset:         46
        .size:           2
        .value_kind:     hidden_group_size_y
      - .offset:         48
        .size:           2
        .value_kind:     hidden_group_size_z
      - .offset:         50
        .size:           2
        .value_kind:     hidden_remainder_x
      - .offset:         52
        .size:           2
        .value_kind:     hidden_remainder_y
      - .offset:         54
        .size:           2
        .value_kind:     hidden_remainder_z
      - .offset:         72
        .size:           8
        .value_kind:     hidden_global_offset_x
      - .offset:         80
        .size:           8
        .value_kind:     hidden_global_offset_y
      - .offset:         88
        .size:           8
        .value_kind:     hidden_global_offset_z
      - .offset:         96
        .size:           2
        .value_kind:     hidden_grid_dims
    .group_segment_fixed_size: 1024
    .kernarg_segment_align: 8
    .kernarg_segment_size: 288
    .language:       OpenCL C
    .language_version:
      - 2
      - 0
    .max_flat_workgroup_size: 1024
    .name:           _Z23bitPackConfigScanKernelIttEvPT_S1_PKT0_PKm
    .private_segment_fixed_size: 0
    .sgpr_count:     20
    .sgpr_spill_count: 0
    .symbol:         _Z23bitPackConfigScanKernelIttEvPT_S1_PKT0_PKm.kd
    .uniform_work_group_size: 1
    .uses_dynamic_stack: false
    .vgpr_count:     8
    .vgpr_spill_count: 0
    .wavefront_size: 64
  - .args:
      - .address_space:  global
        .offset:         0
        .size:           8
        .value_kind:     global_buffer
      - .address_space:  global
        .offset:         8
        .size:           8
        .value_kind:     global_buffer
      - .address_space:  global
        .offset:         16
        .size:           8
        .value_kind:     global_buffer
      - .address_space:  global
        .offset:         24
        .size:           8
        .value_kind:     global_buffer
      - .address_space:  global
        .offset:         32
        .size:           8
        .value_kind:     global_buffer
    .group_segment_fixed_size: 1024
    .kernarg_segment_align: 8
    .kernarg_segment_size: 40
    .language:       OpenCL C
    .language_version:
      - 2
      - 0
    .max_flat_workgroup_size: 1024
    .name:           _Z27bitPackConfigFinalizeKernelIttEvPKT_S2_PhPT0_PKm
    .private_segment_fixed_size: 0
    .sgpr_count:     20
    .sgpr_spill_count: 0
    .symbol:         _Z27bitPackConfigFinalizeKernelIttEvPKT_S2_PhPT0_PKm.kd
    .uniform_work_group_size: 1
    .uses_dynamic_stack: false
    .vgpr_count:     15
    .vgpr_spill_count: 0
    .wavefront_size: 64
  - .args:
      - .address_space:  global
        .offset:         0
        .size:           8
        .value_kind:     global_buffer
      - .address_space:  global
        .offset:         8
        .size:           8
        .value_kind:     global_buffer
      - .address_space:  global
        .offset:         16
        .size:           8
        .value_kind:     global_buffer
      - .address_space:  global
        .offset:         24
        .size:           8
        .value_kind:     global_buffer
      - .address_space:  global
        .offset:         32
        .size:           8
        .value_kind:     global_buffer
      - .offset:         40
        .size:           4
        .value_kind:     hidden_block_count_x
      - .offset:         44
        .size:           4
        .value_kind:     hidden_block_count_y
      - .offset:         48
        .size:           4
        .value_kind:     hidden_block_count_z
      - .offset:         52
        .size:           2
        .value_kind:     hidden_group_size_x
      - .offset:         54
        .size:           2
        .value_kind:     hidden_group_size_y
      - .offset:         56
        .size:           2
        .value_kind:     hidden_group_size_z
      - .offset:         58
        .size:           2
        .value_kind:     hidden_remainder_x
      - .offset:         60
        .size:           2
        .value_kind:     hidden_remainder_y
      - .offset:         62
        .size:           2
        .value_kind:     hidden_remainder_z
      - .offset:         80
        .size:           8
        .value_kind:     hidden_global_offset_x
      - .offset:         88
        .size:           8
        .value_kind:     hidden_global_offset_y
      - .offset:         96
        .size:           8
        .value_kind:     hidden_global_offset_z
      - .offset:         104
        .size:           2
        .value_kind:     hidden_grid_dims
    .group_segment_fixed_size: 512
    .kernarg_segment_align: 8
    .kernarg_segment_size: 296
    .language:       OpenCL C
    .language_version:
      - 2
      - 0
    .max_flat_workgroup_size: 1024
    .name:           _Z13bitPackKernelItjEvPKhPKT_PT0_S4_PKm
    .private_segment_fixed_size: 0
    .sgpr_count:     33
    .sgpr_spill_count: 0
    .symbol:         _Z13bitPackKernelItjEvPKhPKT_PT0_S4_PKm.kd
    .uniform_work_group_size: 1
    .uses_dynamic_stack: false
    .vgpr_count:     24
    .vgpr_spill_count: 0
    .wavefront_size: 64
  - .args:
      - .address_space:  global
        .offset:         0
        .size:           8
        .value_kind:     global_buffer
      - .address_space:  global
        .offset:         8
        .size:           8
        .value_kind:     global_buffer
      - .address_space:  global
        .offset:         16
        .size:           8
        .value_kind:     global_buffer
      - .address_space:  global
        .offset:         24
        .size:           8
        .value_kind:     global_buffer
      - .offset:         32
        .size:           4
        .value_kind:     hidden_block_count_x
      - .offset:         36
        .size:           4
        .value_kind:     hidden_block_count_y
      - .offset:         40
        .size:           4
        .value_kind:     hidden_block_count_z
      - .offset:         44
        .size:           2
        .value_kind:     hidden_group_size_x
      - .offset:         46
        .size:           2
        .value_kind:     hidden_group_size_y
      - .offset:         48
        .size:           2
        .value_kind:     hidden_group_size_z
      - .offset:         50
        .size:           2
        .value_kind:     hidden_remainder_x
      - .offset:         52
        .size:           2
        .value_kind:     hidden_remainder_y
      - .offset:         54
        .size:           2
        .value_kind:     hidden_remainder_z
      - .offset:         72
        .size:           8
        .value_kind:     hidden_global_offset_x
      - .offset:         80
        .size:           8
        .value_kind:     hidden_global_offset_y
      - .offset:         88
        .size:           8
        .value_kind:     hidden_global_offset_z
      - .offset:         96
        .size:           2
        .value_kind:     hidden_grid_dims
    .group_segment_fixed_size: 2048
    .kernarg_segment_align: 8
    .kernarg_segment_size: 288
    .language:       OpenCL C
    .language_version:
      - 2
      - 0
    .max_flat_workgroup_size: 1024
    .name:           _Z23bitPackConfigScanKernelIiiEvPT_S1_PKT0_PKm
    .private_segment_fixed_size: 0
    .sgpr_count:     20
    .sgpr_spill_count: 0
    .symbol:         _Z23bitPackConfigScanKernelIiiEvPT_S1_PKT0_PKm.kd
    .uniform_work_group_size: 1
    .uses_dynamic_stack: false
    .vgpr_count:     8
    .vgpr_spill_count: 0
    .wavefront_size: 64
  - .args:
      - .address_space:  global
        .offset:         0
        .size:           8
        .value_kind:     global_buffer
      - .address_space:  global
        .offset:         8
        .size:           8
        .value_kind:     global_buffer
      - .address_space:  global
        .offset:         16
        .size:           8
        .value_kind:     global_buffer
      - .address_space:  global
        .offset:         24
        .size:           8
        .value_kind:     global_buffer
      - .address_space:  global
        .offset:         32
        .size:           8
        .value_kind:     global_buffer
    .group_segment_fixed_size: 2048
    .kernarg_segment_align: 8
    .kernarg_segment_size: 40
    .language:       OpenCL C
    .language_version:
      - 2
      - 0
    .max_flat_workgroup_size: 1024
    .name:           _Z27bitPackConfigFinalizeKernelIiiEvPKT_S2_PhPT0_PKm
    .private_segment_fixed_size: 0
    .sgpr_count:     20
    .sgpr_spill_count: 0
    .symbol:         _Z27bitPackConfigFinalizeKernelIiiEvPKT_S2_PhPT0_PKm.kd
    .uniform_work_group_size: 1
    .uses_dynamic_stack: false
    .vgpr_count:     15
    .vgpr_spill_count: 0
    .wavefront_size: 64
  - .args:
      - .address_space:  global
        .offset:         0
        .size:           8
        .value_kind:     global_buffer
      - .address_space:  global
        .offset:         8
        .size:           8
        .value_kind:     global_buffer
      - .address_space:  global
        .offset:         16
        .size:           8
        .value_kind:     global_buffer
      - .address_space:  global
        .offset:         24
        .size:           8
        .value_kind:     global_buffer
      - .address_space:  global
        .offset:         32
        .size:           8
        .value_kind:     global_buffer
      - .offset:         40
        .size:           4
        .value_kind:     hidden_block_count_x
      - .offset:         44
        .size:           4
        .value_kind:     hidden_block_count_y
      - .offset:         48
        .size:           4
        .value_kind:     hidden_block_count_z
      - .offset:         52
        .size:           2
        .value_kind:     hidden_group_size_x
      - .offset:         54
        .size:           2
        .value_kind:     hidden_group_size_y
      - .offset:         56
        .size:           2
        .value_kind:     hidden_group_size_z
      - .offset:         58
        .size:           2
        .value_kind:     hidden_remainder_x
      - .offset:         60
        .size:           2
        .value_kind:     hidden_remainder_y
      - .offset:         62
        .size:           2
        .value_kind:     hidden_remainder_z
      - .offset:         80
        .size:           8
        .value_kind:     hidden_global_offset_x
      - .offset:         88
        .size:           8
        .value_kind:     hidden_global_offset_y
      - .offset:         96
        .size:           8
        .value_kind:     hidden_global_offset_z
      - .offset:         104
        .size:           2
        .value_kind:     hidden_grid_dims
    .group_segment_fixed_size: 1024
    .kernarg_segment_align: 8
    .kernarg_segment_size: 296
    .language:       OpenCL C
    .language_version:
      - 2
      - 0
    .max_flat_workgroup_size: 1024
    .name:           _Z13bitPackKernelIijEvPKhPKT_PT0_S4_PKm
    .private_segment_fixed_size: 0
    .sgpr_count:     34
    .sgpr_spill_count: 0
    .symbol:         _Z13bitPackKernelIijEvPKhPKT_PT0_S4_PKm.kd
    .uniform_work_group_size: 1
    .uses_dynamic_stack: false
    .vgpr_count:     24
    .vgpr_spill_count: 0
    .wavefront_size: 64
  - .args:
      - .address_space:  global
        .offset:         0
        .size:           8
        .value_kind:     global_buffer
      - .address_space:  global
        .offset:         8
        .size:           8
        .value_kind:     global_buffer
      - .address_space:  global
        .offset:         16
        .size:           8
        .value_kind:     global_buffer
      - .address_space:  global
        .offset:         24
        .size:           8
        .value_kind:     global_buffer
      - .offset:         32
        .size:           4
        .value_kind:     hidden_block_count_x
      - .offset:         36
        .size:           4
        .value_kind:     hidden_block_count_y
      - .offset:         40
        .size:           4
        .value_kind:     hidden_block_count_z
      - .offset:         44
        .size:           2
        .value_kind:     hidden_group_size_x
      - .offset:         46
        .size:           2
        .value_kind:     hidden_group_size_y
      - .offset:         48
        .size:           2
        .value_kind:     hidden_group_size_z
      - .offset:         50
        .size:           2
        .value_kind:     hidden_remainder_x
      - .offset:         52
        .size:           2
        .value_kind:     hidden_remainder_y
      - .offset:         54
        .size:           2
        .value_kind:     hidden_remainder_z
      - .offset:         72
        .size:           8
        .value_kind:     hidden_global_offset_x
      - .offset:         80
        .size:           8
        .value_kind:     hidden_global_offset_y
      - .offset:         88
        .size:           8
        .value_kind:     hidden_global_offset_z
      - .offset:         96
        .size:           2
        .value_kind:     hidden_grid_dims
    .group_segment_fixed_size: 2048
    .kernarg_segment_align: 8
    .kernarg_segment_size: 288
    .language:       OpenCL C
    .language_version:
      - 2
      - 0
    .max_flat_workgroup_size: 1024
    .name:           _Z23bitPackConfigScanKernelIjjEvPT_S1_PKT0_PKm
    .private_segment_fixed_size: 0
    .sgpr_count:     20
    .sgpr_spill_count: 0
    .symbol:         _Z23bitPackConfigScanKernelIjjEvPT_S1_PKT0_PKm.kd
    .uniform_work_group_size: 1
    .uses_dynamic_stack: false
    .vgpr_count:     8
    .vgpr_spill_count: 0
    .wavefront_size: 64
  - .args:
      - .address_space:  global
        .offset:         0
        .size:           8
        .value_kind:     global_buffer
      - .address_space:  global
        .offset:         8
        .size:           8
        .value_kind:     global_buffer
      - .address_space:  global
        .offset:         16
        .size:           8
        .value_kind:     global_buffer
      - .address_space:  global
        .offset:         24
        .size:           8
        .value_kind:     global_buffer
      - .address_space:  global
        .offset:         32
        .size:           8
        .value_kind:     global_buffer
    .group_segment_fixed_size: 2048
    .kernarg_segment_align: 8
    .kernarg_segment_size: 40
    .language:       OpenCL C
    .language_version:
      - 2
      - 0
    .max_flat_workgroup_size: 1024
    .name:           _Z27bitPackConfigFinalizeKernelIjjEvPKT_S2_PhPT0_PKm
    .private_segment_fixed_size: 0
    .sgpr_count:     20
    .sgpr_spill_count: 0
    .symbol:         _Z27bitPackConfigFinalizeKernelIjjEvPKT_S2_PhPT0_PKm.kd
    .uniform_work_group_size: 1
    .uses_dynamic_stack: false
    .vgpr_count:     15
    .vgpr_spill_count: 0
    .wavefront_size: 64
  - .args:
      - .address_space:  global
        .offset:         0
        .size:           8
        .value_kind:     global_buffer
      - .address_space:  global
        .offset:         8
        .size:           8
        .value_kind:     global_buffer
      - .address_space:  global
        .offset:         16
        .size:           8
        .value_kind:     global_buffer
      - .address_space:  global
        .offset:         24
        .size:           8
        .value_kind:     global_buffer
      - .address_space:  global
        .offset:         32
        .size:           8
        .value_kind:     global_buffer
      - .offset:         40
        .size:           4
        .value_kind:     hidden_block_count_x
      - .offset:         44
        .size:           4
        .value_kind:     hidden_block_count_y
      - .offset:         48
        .size:           4
        .value_kind:     hidden_block_count_z
      - .offset:         52
        .size:           2
        .value_kind:     hidden_group_size_x
      - .offset:         54
        .size:           2
        .value_kind:     hidden_group_size_y
      - .offset:         56
        .size:           2
        .value_kind:     hidden_group_size_z
      - .offset:         58
        .size:           2
        .value_kind:     hidden_remainder_x
      - .offset:         60
        .size:           2
        .value_kind:     hidden_remainder_y
      - .offset:         62
        .size:           2
        .value_kind:     hidden_remainder_z
      - .offset:         80
        .size:           8
        .value_kind:     hidden_global_offset_x
      - .offset:         88
        .size:           8
        .value_kind:     hidden_global_offset_y
      - .offset:         96
        .size:           8
        .value_kind:     hidden_global_offset_z
      - .offset:         104
        .size:           2
        .value_kind:     hidden_grid_dims
    .group_segment_fixed_size: 1024
    .kernarg_segment_align: 8
    .kernarg_segment_size: 296
    .language:       OpenCL C
    .language_version:
      - 2
      - 0
    .max_flat_workgroup_size: 1024
    .name:           _Z13bitPackKernelIjjEvPKhPKT_PT0_S4_PKm
    .private_segment_fixed_size: 0
    .sgpr_count:     34
    .sgpr_spill_count: 0
    .symbol:         _Z13bitPackKernelIjjEvPKhPKT_PT0_S4_PKm.kd
    .uniform_work_group_size: 1
    .uses_dynamic_stack: false
    .vgpr_count:     24
    .vgpr_spill_count: 0
    .wavefront_size: 64
  - .args:
      - .address_space:  global
        .offset:         0
        .size:           8
        .value_kind:     global_buffer
      - .address_space:  global
        .offset:         8
        .size:           8
        .value_kind:     global_buffer
      - .address_space:  global
        .offset:         16
        .size:           8
        .value_kind:     global_buffer
      - .address_space:  global
        .offset:         24
        .size:           8
        .value_kind:     global_buffer
      - .offset:         32
        .size:           4
        .value_kind:     hidden_block_count_x
      - .offset:         36
        .size:           4
        .value_kind:     hidden_block_count_y
      - .offset:         40
        .size:           4
        .value_kind:     hidden_block_count_z
      - .offset:         44
        .size:           2
        .value_kind:     hidden_group_size_x
      - .offset:         46
        .size:           2
        .value_kind:     hidden_group_size_y
      - .offset:         48
        .size:           2
        .value_kind:     hidden_group_size_z
      - .offset:         50
        .size:           2
        .value_kind:     hidden_remainder_x
      - .offset:         52
        .size:           2
        .value_kind:     hidden_remainder_y
      - .offset:         54
        .size:           2
        .value_kind:     hidden_remainder_z
      - .offset:         72
        .size:           8
        .value_kind:     hidden_global_offset_x
      - .offset:         80
        .size:           8
        .value_kind:     hidden_global_offset_y
      - .offset:         88
        .size:           8
        .value_kind:     hidden_global_offset_z
      - .offset:         96
        .size:           2
        .value_kind:     hidden_grid_dims
    .group_segment_fixed_size: 4096
    .kernarg_segment_align: 8
    .kernarg_segment_size: 288
    .language:       OpenCL C
    .language_version:
      - 2
      - 0
    .max_flat_workgroup_size: 1024
    .name:           _Z23bitPackConfigScanKernelIxxEvPT_S1_PKT0_PKm
    .private_segment_fixed_size: 0
    .sgpr_count:     22
    .sgpr_spill_count: 0
    .symbol:         _Z23bitPackConfigScanKernelIxxEvPT_S1_PKT0_PKm.kd
    .uniform_work_group_size: 1
    .uses_dynamic_stack: false
    .vgpr_count:     10
    .vgpr_spill_count: 0
    .wavefront_size: 64
  - .args:
      - .address_space:  global
        .offset:         0
        .size:           8
        .value_kind:     global_buffer
      - .address_space:  global
        .offset:         8
        .size:           8
        .value_kind:     global_buffer
      - .address_space:  global
        .offset:         16
        .size:           8
        .value_kind:     global_buffer
      - .address_space:  global
        .offset:         24
        .size:           8
        .value_kind:     global_buffer
      - .address_space:  global
        .offset:         32
        .size:           8
        .value_kind:     global_buffer
    .group_segment_fixed_size: 4096
    .kernarg_segment_align: 8
    .kernarg_segment_size: 40
    .language:       OpenCL C
    .language_version:
      - 2
      - 0
    .max_flat_workgroup_size: 1024
    .name:           _Z27bitPackConfigFinalizeKernelIxxEvPKT_S2_PhPT0_PKm
    .private_segment_fixed_size: 0
    .sgpr_count:     20
    .sgpr_spill_count: 0
    .symbol:         _Z27bitPackConfigFinalizeKernelIxxEvPKT_S2_PhPT0_PKm.kd
    .uniform_work_group_size: 1
    .uses_dynamic_stack: false
    .vgpr_count:     19
    .vgpr_spill_count: 0
    .wavefront_size: 64
  - .args:
      - .address_space:  global
        .offset:         0
        .size:           8
        .value_kind:     global_buffer
      - .address_space:  global
        .offset:         8
        .size:           8
        .value_kind:     global_buffer
      - .address_space:  global
        .offset:         16
        .size:           8
        .value_kind:     global_buffer
      - .address_space:  global
        .offset:         24
        .size:           8
        .value_kind:     global_buffer
      - .address_space:  global
        .offset:         32
        .size:           8
        .value_kind:     global_buffer
      - .offset:         40
        .size:           4
        .value_kind:     hidden_block_count_x
      - .offset:         44
        .size:           4
        .value_kind:     hidden_block_count_y
      - .offset:         48
        .size:           4
        .value_kind:     hidden_block_count_z
      - .offset:         52
        .size:           2
        .value_kind:     hidden_group_size_x
      - .offset:         54
        .size:           2
        .value_kind:     hidden_group_size_y
      - .offset:         56
        .size:           2
        .value_kind:     hidden_group_size_z
      - .offset:         58
        .size:           2
        .value_kind:     hidden_remainder_x
      - .offset:         60
        .size:           2
        .value_kind:     hidden_remainder_y
      - .offset:         62
        .size:           2
        .value_kind:     hidden_remainder_z
      - .offset:         80
        .size:           8
        .value_kind:     hidden_global_offset_x
      - .offset:         88
        .size:           8
        .value_kind:     hidden_global_offset_y
      - .offset:         96
        .size:           8
        .value_kind:     hidden_global_offset_z
      - .offset:         104
        .size:           2
        .value_kind:     hidden_grid_dims
    .group_segment_fixed_size: 2048
    .kernarg_segment_align: 8
    .kernarg_segment_size: 296
    .language:       OpenCL C
    .language_version:
      - 2
      - 0
    .max_flat_workgroup_size: 1024
    .name:           _Z13bitPackKernelIxmEvPKhPKT_PT0_S4_PKm
    .private_segment_fixed_size: 0
    .sgpr_count:     34
    .sgpr_spill_count: 0
    .symbol:         _Z13bitPackKernelIxmEvPKhPKT_PT0_S4_PKm.kd
    .uniform_work_group_size: 1
    .uses_dynamic_stack: false
    .vgpr_count:     23
    .vgpr_spill_count: 0
    .wavefront_size: 64
  - .args:
      - .address_space:  global
        .offset:         0
        .size:           8
        .value_kind:     global_buffer
      - .address_space:  global
        .offset:         8
        .size:           8
        .value_kind:     global_buffer
      - .address_space:  global
        .offset:         16
        .size:           8
        .value_kind:     global_buffer
      - .address_space:  global
        .offset:         24
        .size:           8
        .value_kind:     global_buffer
      - .offset:         32
        .size:           4
        .value_kind:     hidden_block_count_x
      - .offset:         36
        .size:           4
        .value_kind:     hidden_block_count_y
      - .offset:         40
        .size:           4
        .value_kind:     hidden_block_count_z
      - .offset:         44
        .size:           2
        .value_kind:     hidden_group_size_x
      - .offset:         46
        .size:           2
        .value_kind:     hidden_group_size_y
      - .offset:         48
        .size:           2
        .value_kind:     hidden_group_size_z
      - .offset:         50
        .size:           2
        .value_kind:     hidden_remainder_x
      - .offset:         52
        .size:           2
        .value_kind:     hidden_remainder_y
      - .offset:         54
        .size:           2
        .value_kind:     hidden_remainder_z
      - .offset:         72
        .size:           8
        .value_kind:     hidden_global_offset_x
      - .offset:         80
        .size:           8
        .value_kind:     hidden_global_offset_y
      - .offset:         88
        .size:           8
        .value_kind:     hidden_global_offset_z
      - .offset:         96
        .size:           2
        .value_kind:     hidden_grid_dims
    .group_segment_fixed_size: 4096
    .kernarg_segment_align: 8
    .kernarg_segment_size: 288
    .language:       OpenCL C
    .language_version:
      - 2
      - 0
    .max_flat_workgroup_size: 1024
    .name:           _Z23bitPackConfigScanKernelIyyEvPT_S1_PKT0_PKm
    .private_segment_fixed_size: 0
    .sgpr_count:     22
    .sgpr_spill_count: 0
    .symbol:         _Z23bitPackConfigScanKernelIyyEvPT_S1_PKT0_PKm.kd
    .uniform_work_group_size: 1
    .uses_dynamic_stack: false
    .vgpr_count:     10
    .vgpr_spill_count: 0
    .wavefront_size: 64
  - .args:
      - .address_space:  global
        .offset:         0
        .size:           8
        .value_kind:     global_buffer
      - .address_space:  global
        .offset:         8
        .size:           8
        .value_kind:     global_buffer
      - .address_space:  global
        .offset:         16
        .size:           8
        .value_kind:     global_buffer
      - .address_space:  global
        .offset:         24
        .size:           8
        .value_kind:     global_buffer
      - .address_space:  global
        .offset:         32
        .size:           8
        .value_kind:     global_buffer
    .group_segment_fixed_size: 4096
    .kernarg_segment_align: 8
    .kernarg_segment_size: 40
    .language:       OpenCL C
    .language_version:
      - 2
      - 0
    .max_flat_workgroup_size: 1024
    .name:           _Z27bitPackConfigFinalizeKernelIyyEvPKT_S2_PhPT0_PKm
    .private_segment_fixed_size: 0
    .sgpr_count:     20
    .sgpr_spill_count: 0
    .symbol:         _Z27bitPackConfigFinalizeKernelIyyEvPKT_S2_PhPT0_PKm.kd
    .uniform_work_group_size: 1
    .uses_dynamic_stack: false
    .vgpr_count:     19
    .vgpr_spill_count: 0
    .wavefront_size: 64
  - .args:
      - .address_space:  global
        .offset:         0
        .size:           8
        .value_kind:     global_buffer
      - .address_space:  global
        .offset:         8
        .size:           8
        .value_kind:     global_buffer
      - .address_space:  global
        .offset:         16
        .size:           8
        .value_kind:     global_buffer
      - .address_space:  global
        .offset:         24
        .size:           8
        .value_kind:     global_buffer
      - .address_space:  global
        .offset:         32
        .size:           8
        .value_kind:     global_buffer
      - .offset:         40
        .size:           4
        .value_kind:     hidden_block_count_x
      - .offset:         44
        .size:           4
        .value_kind:     hidden_block_count_y
      - .offset:         48
        .size:           4
        .value_kind:     hidden_block_count_z
      - .offset:         52
        .size:           2
        .value_kind:     hidden_group_size_x
      - .offset:         54
        .size:           2
        .value_kind:     hidden_group_size_y
      - .offset:         56
        .size:           2
        .value_kind:     hidden_group_size_z
      - .offset:         58
        .size:           2
        .value_kind:     hidden_remainder_x
      - .offset:         60
        .size:           2
        .value_kind:     hidden_remainder_y
      - .offset:         62
        .size:           2
        .value_kind:     hidden_remainder_z
      - .offset:         80
        .size:           8
        .value_kind:     hidden_global_offset_x
      - .offset:         88
        .size:           8
        .value_kind:     hidden_global_offset_y
      - .offset:         96
        .size:           8
        .value_kind:     hidden_global_offset_z
      - .offset:         104
        .size:           2
        .value_kind:     hidden_grid_dims
    .group_segment_fixed_size: 2048
    .kernarg_segment_align: 8
    .kernarg_segment_size: 296
    .language:       OpenCL C
    .language_version:
      - 2
      - 0
    .max_flat_workgroup_size: 1024
    .name:           _Z13bitPackKernelIymEvPKhPKT_PT0_S4_PKm
    .private_segment_fixed_size: 0
    .sgpr_count:     34
    .sgpr_spill_count: 0
    .symbol:         _Z13bitPackKernelIymEvPKhPKT_PT0_S4_PKm.kd
    .uniform_work_group_size: 1
    .uses_dynamic_stack: false
    .vgpr_count:     23
    .vgpr_spill_count: 0
    .wavefront_size: 64
amdhsa.target:   amdgcn-amd-amdhsa--gfx906
amdhsa.version:
  - 1
  - 2
...

	.end_amdgpu_metadata
